;; amdgpu-corpus repo=ROCm/rocFFT kind=compiled arch=gfx1201 opt=O3
	.text
	.amdgcn_target "amdgcn-amd-amdhsa--gfx1201"
	.amdhsa_code_object_version 6
	.protected	bluestein_single_fwd_len1155_dim1_sp_op_CI_CI ; -- Begin function bluestein_single_fwd_len1155_dim1_sp_op_CI_CI
	.globl	bluestein_single_fwd_len1155_dim1_sp_op_CI_CI
	.p2align	8
	.type	bluestein_single_fwd_len1155_dim1_sp_op_CI_CI,@function
bluestein_single_fwd_len1155_dim1_sp_op_CI_CI: ; @bluestein_single_fwd_len1155_dim1_sp_op_CI_CI
; %bb.0:
	s_load_b128 s[12:15], s[0:1], 0x28
	v_mul_u32_u24_e32 v1, 0x4a8, v0
	s_mov_b32 s2, exec_lo
	v_mov_b32_e32 v147, 0
	s_delay_alu instid0(VALU_DEP_2) | instskip(NEXT) | instid1(VALU_DEP_1)
	v_lshrrev_b32_e32 v1, 16, v1
	v_add_nc_u32_e32 v146, ttmp9, v1
	s_wait_kmcnt 0x0
	s_delay_alu instid0(VALU_DEP_1)
	v_cmpx_gt_u64_e64 s[12:13], v[146:147]
	s_cbranch_execz .LBB0_23
; %bb.1:
	s_clause 0x1
	s_load_b128 s[4:7], s[0:1], 0x18
	s_load_b64 s[12:13], s[0:1], 0x0
	v_mul_lo_u16 v1, v1, 55
	s_delay_alu instid0(VALU_DEP_1) | instskip(NEXT) | instid1(VALU_DEP_1)
	v_sub_nc_u16 v32, v0, v1
	v_and_b32_e32 v174, 0xffff, v32
	s_wait_kmcnt 0x0
	s_load_b128 s[8:11], s[4:5], 0x0
	s_wait_kmcnt 0x0
	v_mad_co_u64_u32 v[0:1], null, s10, v146, 0
	v_mad_co_u64_u32 v[2:3], null, s8, v174, 0
	s_mul_u64 s[2:3], s[8:9], 0x69
	s_delay_alu instid0(VALU_DEP_1) | instskip(NEXT) | instid1(VALU_DEP_1)
	v_mad_co_u64_u32 v[4:5], null, s11, v146, v[1:2]
	v_mov_b32_e32 v1, v4
	s_delay_alu instid0(VALU_DEP_3)
	v_mad_co_u64_u32 v[5:6], null, s9, v174, v[3:4]
	v_lshlrev_b32_e32 v173, 3, v174
	s_clause 0x3
	global_load_b64 v[167:168], v173, s[12:13]
	global_load_b64 v[163:164], v173, s[12:13] offset:840
	global_load_b64 v[165:166], v173, s[12:13] offset:1680
	;; [unrolled: 1-line block ×3, first 2 shown]
	v_mov_b32_e32 v3, v5
	v_lshlrev_b64_e32 v[0:1], 3, v[0:1]
	s_clause 0x4
	global_load_b64 v[155:156], v173, s[12:13] offset:3360
	global_load_b64 v[157:158], v173, s[12:13] offset:4200
	;; [unrolled: 1-line block ×5, first 2 shown]
	v_lshlrev_b64_e32 v[2:3], 3, v[2:3]
	v_add_co_u32 v0, vcc_lo, s14, v0
	v_add_co_ci_u32_e32 v1, vcc_lo, s15, v1, vcc_lo
	s_lshl_b64 s[14:15], s[2:3], 3
	s_delay_alu instid0(VALU_DEP_2) | instskip(SKIP_1) | instid1(VALU_DEP_2)
	v_add_co_u32 v0, vcc_lo, v0, v2
	s_wait_alu 0xfffd
	v_add_co_ci_u32_e32 v1, vcc_lo, v1, v3, vcc_lo
	s_wait_alu 0xfffe
	s_delay_alu instid0(VALU_DEP_2) | instskip(SKIP_1) | instid1(VALU_DEP_2)
	v_add_co_u32 v2, vcc_lo, v0, s14
	s_wait_alu 0xfffd
	v_add_co_ci_u32_e32 v3, vcc_lo, s15, v1, vcc_lo
	s_clause 0x1
	global_load_b64 v[8:9], v[0:1], off
	global_load_b64 v[10:11], v[2:3], off
	v_add_co_u32 v4, vcc_lo, v2, s14
	s_wait_alu 0xfffd
	v_add_co_ci_u32_e32 v5, vcc_lo, s15, v3, vcc_lo
	s_delay_alu instid0(VALU_DEP_2) | instskip(SKIP_1) | instid1(VALU_DEP_2)
	v_add_co_u32 v6, vcc_lo, v4, s14
	s_wait_alu 0xfffd
	v_add_co_ci_u32_e32 v7, vcc_lo, s15, v5, vcc_lo
	s_delay_alu instid0(VALU_DEP_2) | instskip(SKIP_1) | instid1(VALU_DEP_2)
	v_add_co_u32 v0, vcc_lo, v6, s14
	s_wait_alu 0xfffd
	v_add_co_ci_u32_e32 v1, vcc_lo, s15, v7, vcc_lo
	s_clause 0x1
	global_load_b64 v[12:13], v[4:5], off
	global_load_b64 v[6:7], v[6:7], off
	v_add_co_u32 v2, vcc_lo, v0, s14
	s_wait_alu 0xfffd
	v_add_co_ci_u32_e32 v3, vcc_lo, s15, v1, vcc_lo
	global_load_b64 v[14:15], v[0:1], off
	v_add_co_u32 v0, vcc_lo, v2, s14
	s_wait_alu 0xfffd
	v_add_co_ci_u32_e32 v1, vcc_lo, s15, v3, vcc_lo
	;; [unrolled: 4-line block ×6, first 2 shown]
	v_cmp_gt_u16_e32 vcc_lo, 50, v32
	s_wait_loadcnt 0x8
	v_mul_f32_e32 v28, v9, v168
	v_add_nc_u32_e32 v4, 0x1000, v173
	global_load_b64 v[24:25], v[2:3], off
	s_clause 0x1
	global_load_b64 v[159:160], v173, s[12:13] offset:7560
	global_load_b64 v[161:162], v173, s[12:13] offset:8400
	global_load_b64 v[26:27], v[0:1], off
	s_wait_loadcnt 0xb
	v_dual_mul_f32 v30, v11, v164 :: v_dual_add_nc_u32 v5, 0x400, v173
	v_dual_mul_f32 v29, v8, v168 :: v_dual_add_nc_u32 v2, 0x1800, v173
	v_dual_fmac_f32 v28, v8, v167 :: v_dual_add_nc_u32 v3, 0xc00, v173
	s_delay_alu instid0(VALU_DEP_3) | instskip(NEXT) | instid1(VALU_DEP_3)
	v_fmac_f32_e32 v30, v10, v163
	v_fma_f32 v29, v9, v167, -v29
	v_mul_f32_e32 v9, v10, v164
	s_load_b64 s[10:11], s[0:1], 0x38
	s_load_b128 s[4:7], s[6:7], 0x0
	v_add_co_u32 v144, s2, s12, v173
	s_wait_loadcnt 0xa
	v_mul_f32_e32 v8, v13, v166
	v_mul_f32_e32 v33, v12, v166
	s_wait_loadcnt 0x9
	v_mul_f32_e32 v10, v7, v150
	v_mul_f32_e32 v34, v6, v150
	v_fma_f32 v31, v11, v163, -v9
	v_fmac_f32_e32 v8, v12, v165
	v_fma_f32 v9, v13, v165, -v33
	v_add_co_ci_u32_e64 v145, null, s13, 0, s2
	v_fma_f32 v11, v7, v149, -v34
	s_wait_loadcnt 0x8
	v_mul_f32_e32 v7, v14, v156
	v_fmac_f32_e32 v10, v6, v149
	ds_store_2addr_b64 v173, v[28:29], v[30:31] offset1:105
	v_mul_f32_e32 v6, v15, v156
	s_wait_loadcnt 0x7
	v_mul_f32_e32 v12, v17, v158
	v_fma_f32 v7, v15, v155, -v7
	ds_store_2addr_b64 v5, v[8:9], v[10:11] offset0:82 offset1:187
	s_wait_loadcnt 0x6
	v_dual_mul_f32 v9, v16, v158 :: v_dual_mul_f32 v8, v19, v148
	s_wait_loadcnt 0x5
	v_mul_f32_e32 v10, v21, v152
	s_delay_alu instid0(VALU_DEP_2)
	v_fma_f32 v13, v17, v157, -v9
	v_mul_f32_e32 v9, v18, v148
	v_dual_mul_f32 v11, v20, v152 :: v_dual_fmac_f32 v8, v18, v147
	s_wait_loadcnt 0x4
	v_mul_f32_e32 v15, v22, v154
	v_fmac_f32_e32 v6, v14, v155
	v_mul_f32_e32 v14, v23, v154
	v_fma_f32 v9, v19, v147, -v9
	v_fmac_f32_e32 v10, v20, v151
	v_fma_f32 v11, v21, v151, -v11
	v_fma_f32 v15, v23, v153, -v15
	s_wait_loadcnt 0x2
	v_dual_fmac_f32 v14, v22, v153 :: v_dual_mul_f32 v17, v24, v160
	s_wait_loadcnt 0x0
	v_dual_fmac_f32 v12, v16, v157 :: v_dual_mul_f32 v19, v26, v162
	v_mul_f32_e32 v16, v25, v160
	v_mul_f32_e32 v18, v27, v162
	v_fma_f32 v17, v25, v159, -v17
	s_delay_alu instid0(VALU_DEP_4) | instskip(NEXT) | instid1(VALU_DEP_4)
	v_fma_f32 v19, v27, v161, -v19
	v_fmac_f32_e32 v16, v24, v159
	s_delay_alu instid0(VALU_DEP_4)
	v_fmac_f32_e32 v18, v26, v161
	ds_store_2addr_b64 v3, v[6:7], v[12:13] offset0:36 offset1:141
	ds_store_2addr_b64 v4, v[8:9], v[10:11] offset0:118 offset1:223
	;; [unrolled: 1-line block ×3, first 2 shown]
	ds_store_b64 v173, v[18:19] offset:8400
	s_and_saveexec_b32 s3, vcc_lo
	s_cbranch_execz .LBB0_3
; %bb.2:
	v_mad_co_u64_u32 v[0:1], null, 0xffffe0e8, s8, v[0:1]
	s_mul_i32 s2, s9, 0xffffe0e8
	s_clause 0x3
	global_load_b64 v[6:7], v[144:145], off offset:440
	global_load_b64 v[8:9], v[144:145], off offset:1280
	;; [unrolled: 1-line block ×4, first 2 shown]
	s_wait_alu 0xfffe
	s_sub_co_i32 s2, s2, s8
	s_clause 0x1
	global_load_b64 v[16:17], v[144:145], off offset:3800
	global_load_b64 v[18:19], v[144:145], off offset:4640
	v_add_nc_u32_e32 v50, 0x800, v173
	s_wait_alu 0xfffe
	v_add_nc_u32_e32 v1, s2, v1
	v_add_co_u32 v14, s2, v0, s14
	s_wait_alu 0xf1ff
	s_delay_alu instid0(VALU_DEP_2) | instskip(NEXT) | instid1(VALU_DEP_2)
	v_add_co_ci_u32_e64 v15, s2, s15, v1, s2
	v_add_co_u32 v20, s2, v14, s14
	global_load_b64 v[0:1], v[0:1], off
	s_wait_alu 0xf1ff
	v_add_co_ci_u32_e64 v21, s2, s15, v15, s2
	v_add_co_u32 v22, s2, v20, s14
	global_load_b64 v[14:15], v[14:15], off
	s_wait_alu 0xf1ff
	;; [unrolled: 4-line block ×6, first 2 shown]
	v_add_co_ci_u32_e64 v31, s2, s15, v29, s2
	v_add_co_u32 v32, s2, v30, s14
	s_wait_alu 0xf1ff
	s_delay_alu instid0(VALU_DEP_2)
	v_add_co_ci_u32_e64 v33, s2, s15, v31, s2
	s_clause 0x1
	global_load_b64 v[34:35], v[144:145], off offset:5480
	global_load_b64 v[36:37], v[144:145], off offset:6320
	global_load_b64 v[28:29], v[28:29], off
	global_load_b64 v[30:31], v[30:31], off
	;; [unrolled: 1-line block ×3, first 2 shown]
	v_add_co_u32 v32, s2, v32, s14
	s_wait_alu 0xf1ff
	v_add_co_ci_u32_e64 v33, s2, s15, v33, s2
	global_load_b64 v[40:41], v[144:145], off offset:7160
	v_add_co_u32 v42, s2, v32, s14
	s_wait_alu 0xf1ff
	v_add_co_ci_u32_e64 v43, s2, s15, v33, s2
	global_load_b64 v[32:33], v[32:33], off
	s_clause 0x1
	global_load_b64 v[44:45], v[144:145], off offset:8000
	global_load_b64 v[46:47], v[144:145], off offset:8840
	global_load_b64 v[42:43], v[42:43], off
	s_wait_loadcnt 0xf
	v_mul_f32_e32 v48, v1, v7
	v_mul_f32_e32 v49, v0, v7
	s_wait_loadcnt 0xe
	v_mul_f32_e32 v7, v15, v9
	s_delay_alu instid0(VALU_DEP_3) | instskip(NEXT) | instid1(VALU_DEP_3)
	v_dual_mul_f32 v9, v14, v9 :: v_dual_fmac_f32 v48, v0, v6
	v_fma_f32 v49, v1, v6, -v49
	s_wait_loadcnt 0xd
	s_delay_alu instid0(VALU_DEP_3) | instskip(NEXT) | instid1(VALU_DEP_3)
	v_dual_mul_f32 v0, v21, v11 :: v_dual_fmac_f32 v7, v14, v8
	v_fma_f32 v8, v15, v8, -v9
	s_delay_alu instid0(VALU_DEP_2)
	v_dual_fmac_f32 v0, v20, v10 :: v_dual_add_nc_u32 v51, 0x1400, v173
	s_wait_loadcnt 0xc
	v_dual_mul_f32 v6, v23, v13 :: v_dual_mul_f32 v1, v20, v11
	ds_store_2addr_b64 v173, v[48:49], v[7:8] offset0:55 offset1:160
	v_mul_f32_e32 v7, v22, v13
	s_wait_loadcnt 0xb
	v_mul_f32_e32 v8, v25, v17
	v_fmac_f32_e32 v6, v22, v12
	v_fma_f32 v1, v21, v10, -v1
	s_wait_loadcnt 0xa
	v_mul_f32_e32 v11, v26, v19
	v_dual_mul_f32 v10, v27, v19 :: v_dual_mul_f32 v9, v24, v17
	v_fma_f32 v7, v23, v12, -v7
	v_fmac_f32_e32 v8, v24, v16
	s_delay_alu instid0(VALU_DEP_4)
	v_fma_f32 v11, v27, v18, -v11
	s_wait_loadcnt 0x6
	v_dual_mul_f32 v13, v28, v35 :: v_dual_mul_f32 v14, v31, v37
	v_dual_mul_f32 v12, v29, v35 :: v_dual_mul_f32 v15, v30, v37
	v_fmac_f32_e32 v10, v26, v18
	v_fma_f32 v9, v25, v16, -v9
	s_delay_alu instid0(VALU_DEP_4)
	v_fmac_f32_e32 v14, v30, v36
	s_wait_loadcnt 0x4
	v_mul_f32_e32 v16, v39, v41
	v_dual_mul_f32 v17, v38, v41 :: v_dual_fmac_f32 v12, v28, v34
	s_wait_loadcnt 0x2
	v_mul_f32_e32 v18, v33, v45
	v_mul_f32_e32 v19, v32, v45
	s_wait_loadcnt 0x0
	v_mul_f32_e32 v21, v42, v47
	v_mul_f32_e32 v20, v43, v47
	v_fma_f32 v13, v29, v34, -v13
	v_fma_f32 v15, v31, v36, -v15
	v_fmac_f32_e32 v16, v38, v40
	v_fma_f32 v17, v39, v40, -v17
	v_fmac_f32_e32 v18, v32, v44
	;; [unrolled: 2-line block ×3, first 2 shown]
	v_fma_f32 v21, v43, v46, -v21
	ds_store_2addr_b64 v50, v[0:1], v[6:7] offset0:9 offset1:114
	ds_store_2addr_b64 v3, v[8:9], v[10:11] offset0:91 offset1:196
	;; [unrolled: 1-line block ×4, first 2 shown]
	ds_store_b64 v173, v[20:21] offset:8840
.LBB0_3:
	s_wait_alu 0xfffe
	s_or_b32 exec_lo, exec_lo, s3
	global_wb scope:SCOPE_SE
	s_wait_dscnt 0x0
	s_wait_kmcnt 0x0
	s_barrier_signal -1
	s_barrier_wait -1
	global_inv scope:SCOPE_SE
	ds_load_2addr_b64 v[36:39], v173 offset1:105
	ds_load_2addr_b64 v[28:31], v5 offset0:82 offset1:187
	ds_load_2addr_b64 v[20:23], v3 offset0:36 offset1:141
	;; [unrolled: 1-line block ×4, first 2 shown]
	ds_load_b64 v[42:43], v173 offset:8400
	v_mov_b32_e32 v0, 0
	v_mov_b32_e32 v1, 0
                                        ; kill: def $vgpr2 killed $sgpr0 killed $exec
                                        ; implicit-def: $vgpr8
                                        ; implicit-def: $vgpr4
                                        ; implicit-def: $vgpr40
                                        ; implicit-def: $vgpr14
                                        ; implicit-def: $vgpr18
	s_and_saveexec_b32 s2, vcc_lo
	s_cbranch_execz .LBB0_5
; %bb.4:
	v_add_nc_u32_e32 v4, 0x800, v173
	v_add_nc_u32_e32 v5, 0xc00, v173
	;; [unrolled: 1-line block ×4, first 2 shown]
	ds_load_2addr_b64 v[0:3], v173 offset0:55 offset1:160
	ds_load_2addr_b64 v[16:19], v4 offset0:9 offset1:114
	;; [unrolled: 1-line block ×5, first 2 shown]
	ds_load_b64 v[40:41], v173 offset:8840
.LBB0_5:
	s_wait_alu 0xfffe
	s_or_b32 exec_lo, exec_lo, s2
	s_wait_dscnt 0x5
	v_dual_add_f32 v44, v36, v38 :: v_dual_add_f32 v45, v37, v39
	s_load_b64 s[2:3], s[0:1], 0x8
	v_add_co_u32 v96, s0, v174, 55
	s_wait_dscnt 0x4
	s_delay_alu instid0(VALU_DEP_2)
	v_dual_add_f32 v44, v44, v28 :: v_dual_add_f32 v45, v45, v29
	s_wait_alu 0xf1ff
	v_add_co_ci_u32_e64 v46, null, 0, 0, s0
	s_wait_dscnt 0x0
	v_dual_add_f32 v46, v42, v38 :: v_dual_sub_f32 v47, v39, v43
	v_dual_add_f32 v44, v44, v30 :: v_dual_add_f32 v45, v45, v31
	v_sub_f32_e32 v48, v38, v42
	v_sub_f32_e32 v66, v14, v8
	v_mul_u32_u24_e32 v175, 11, v96
	s_delay_alu instid0(VALU_DEP_4) | instskip(SKIP_2) | instid1(VALU_DEP_3)
	v_add_f32_e32 v38, v44, v20
	v_dual_add_f32 v44, v45, v21 :: v_dual_add_f32 v45, v43, v39
	v_mul_f32_e32 v49, 0xbf0a6770, v48
	v_dual_mul_f32 v39, 0xbf0a6770, v47 :: v_dual_add_f32 v38, v38, v22
	s_delay_alu instid0(VALU_DEP_3)
	v_dual_mul_f32 v51, 0xbf68dda4, v48 :: v_dual_add_f32 v44, v44, v23
	global_wb scope:SCOPE_SE
	v_fma_f32 v53, 0x3f575c64, v46, -v39
	v_fmac_f32_e32 v39, 0x3f575c64, v46
	v_mul_f32_e32 v50, 0xbf68dda4, v47
	v_add_f32_e32 v44, v44, v25
	s_delay_alu instid0(VALU_DEP_4) | instskip(NEXT) | instid1(VALU_DEP_4)
	v_dual_fmamk_f32 v56, v45, 0x3ed4b147, v51 :: v_dual_add_f32 v53, v36, v53
	v_dual_add_f32 v38, v38, v24 :: v_dual_add_f32 v57, v36, v39
	s_delay_alu instid0(VALU_DEP_4)
	v_fma_f32 v55, 0x3ed4b147, v46, -v50
	v_fmamk_f32 v54, v45, 0x3f575c64, v49
	v_fma_f32 v49, 0x3f575c64, v45, -v49
	v_mul_f32_e32 v52, 0xbf7d64f0, v47
	s_wait_kmcnt 0x0
	s_barrier_signal -1
	v_dual_add_f32 v55, v36, v55 :: v_dual_add_f32 v54, v37, v54
	v_mul_f32_e32 v58, 0xbf4178ce, v47
	v_sub_f32_e32 v63, v29, v35
	v_dual_add_f32 v29, v35, v29 :: v_dual_add_f32 v44, v44, v27
	v_mul_f32_e32 v47, 0xbe903f40, v47
	s_delay_alu instid0(VALU_DEP_4)
	v_fma_f32 v60, 0xbf27a4f4, v46, -v58
	v_mul_f32_e32 v59, 0xbf4178ce, v48
	v_add_f32_e32 v49, v37, v49
	v_add_f32_e32 v44, v44, v33
	v_fma_f32 v62, 0xbf75a155, v46, -v47
	v_dual_add_f32 v60, v36, v60 :: v_dual_fmac_f32 v47, 0xbf75a155, v46
	v_fmac_f32_e32 v58, 0xbf27a4f4, v46
	s_delay_alu instid0(VALU_DEP_4)
	v_add_f32_e32 v44, v44, v35
	v_add_f32_e32 v38, v38, v26
	v_add_f32_e32 v62, v36, v62
	s_barrier_wait -1
	global_inv scope:SCOPE_SE
	v_dual_add_f32 v39, v44, v43 :: v_dual_add_f32 v38, v38, v32
	v_mul_f32_e32 v43, 0xbf7d64f0, v48
	v_fmamk_f32 v61, v45, 0xbf27a4f4, v59
	v_fma_f32 v59, 0xbf27a4f4, v45, -v59
	v_fmac_f32_e32 v50, 0x3ed4b147, v46
	v_add_f32_e32 v38, v38, v34
	v_fma_f32 v44, 0xbe11bafb, v46, -v52
	v_fmac_f32_e32 v52, 0xbe11bafb, v46
	v_sub_f32_e32 v46, v28, v34
	v_add_f32_e32 v28, v34, v28
	v_dual_add_f32 v38, v38, v42 :: v_dual_add_f32 v59, v37, v59
	v_fma_f32 v42, 0x3ed4b147, v45, -v51
	v_add_f32_e32 v51, v37, v56
	v_mul_f32_e32 v48, 0xbe903f40, v48
	v_mul_f32_e32 v34, 0xbf68dda4, v63
	v_fmamk_f32 v56, v45, 0xbe11bafb, v43
	v_dual_add_f32 v44, v36, v44 :: v_dual_mul_f32 v35, 0xbf68dda4, v46
	s_delay_alu instid0(VALU_DEP_4)
	v_fmamk_f32 v64, v45, 0xbf75a155, v48
	v_fma_f32 v43, 0xbe11bafb, v45, -v43
	v_fma_f32 v45, 0xbf75a155, v45, -v48
	v_add_f32_e32 v42, v37, v42
	v_add_f32_e32 v61, v37, v61
	;; [unrolled: 1-line block ×3, first 2 shown]
	v_fma_f32 v64, 0x3ed4b147, v28, -v34
	v_dual_add_f32 v50, v36, v50 :: v_dual_add_f32 v43, v37, v43
	v_add_f32_e32 v58, v36, v58
	s_delay_alu instid0(VALU_DEP_3)
	v_dual_fmac_f32 v34, 0x3ed4b147, v28 :: v_dual_add_f32 v53, v64, v53
	v_add_f32_e32 v56, v37, v56
	v_add_f32_e32 v37, v37, v45
	v_fmamk_f32 v45, v29, 0x3ed4b147, v35
	v_fma_f32 v35, 0x3ed4b147, v29, -v35
	v_mul_f32_e32 v64, 0xbf4178ce, v46
	v_dual_add_f32 v34, v34, v57 :: v_dual_sub_f32 v67, v12, v10
	s_delay_alu instid0(VALU_DEP_4) | instskip(NEXT) | instid1(VALU_DEP_4)
	v_add_f32_e32 v45, v45, v54
	v_dual_add_f32 v35, v35, v49 :: v_dual_add_f32 v52, v36, v52
	v_add_f32_e32 v36, v36, v47
	v_mul_f32_e32 v47, 0xbf4178ce, v63
	v_mul_f32_e32 v49, 0x3e903f40, v63
	v_fma_f32 v57, 0xbf27a4f4, v29, -v64
	s_delay_alu instid0(VALU_DEP_3) | instskip(NEXT) | instid1(VALU_DEP_1)
	v_fma_f32 v54, 0xbf27a4f4, v28, -v47
	v_dual_add_f32 v54, v54, v55 :: v_dual_fmamk_f32 v55, v29, 0xbf27a4f4, v64
	s_delay_alu instid0(VALU_DEP_4)
	v_fma_f32 v64, 0xbf75a155, v28, -v49
	v_fmac_f32_e32 v49, 0xbf75a155, v28
	v_mul_f32_e32 v65, 0x3e903f40, v46
	v_fmac_f32_e32 v47, 0xbf27a4f4, v28
	v_add_f32_e32 v51, v55, v51
	v_mul_f32_e32 v55, 0x3f7d64f0, v63
	v_dual_mul_f32 v63, 0x3f0a6770, v63 :: v_dual_add_f32 v42, v57, v42
	s_delay_alu instid0(VALU_DEP_4) | instskip(SKIP_3) | instid1(VALU_DEP_4)
	v_dual_add_f32 v47, v47, v50 :: v_dual_fmamk_f32 v50, v29, 0xbf75a155, v65
	v_mul_f32_e32 v57, 0x3f7d64f0, v46
	v_dual_add_f32 v49, v49, v52 :: v_dual_mul_f32 v46, 0x3f0a6770, v46
	v_add_f32_e32 v44, v64, v44
	v_add_f32_e32 v50, v50, v56
	v_fma_f32 v56, 0xbe11bafb, v28, -v55
	v_fmamk_f32 v52, v29, 0xbe11bafb, v57
	v_fma_f32 v57, 0xbe11bafb, v29, -v57
	v_fmac_f32_e32 v55, 0xbe11bafb, v28
	v_fma_f32 v64, 0xbf75a155, v29, -v65
	v_add_f32_e32 v56, v56, v60
	v_fma_f32 v60, 0x3f575c64, v28, -v63
	v_add_f32_e32 v57, v57, v59
	v_add_f32_e32 v55, v55, v58
	v_fmac_f32_e32 v63, 0x3f575c64, v28
	v_fma_f32 v28, 0x3f575c64, v29, -v46
	v_dual_add_f32 v59, v60, v62 :: v_dual_fmamk_f32 v60, v29, 0x3f575c64, v46
	v_dual_add_f32 v29, v33, v31 :: v_dual_sub_f32 v58, v31, v33
	v_add_f32_e32 v43, v64, v43
	s_delay_alu instid0(VALU_DEP_4) | instskip(NEXT) | instid1(VALU_DEP_4)
	v_add_f32_e32 v28, v28, v37
	v_add_f32_e32 v33, v60, v48
	;; [unrolled: 1-line block ×3, first 2 shown]
	v_dual_add_f32 v61, v32, v30 :: v_dual_sub_f32 v30, v30, v32
	v_dual_sub_f32 v64, v15, v9 :: v_dual_mul_f32 v65, 0x3f0a6770, v66
	s_delay_alu instid0(VALU_DEP_2) | instskip(SKIP_1) | instid1(VALU_DEP_2)
	v_mul_f32_e32 v32, 0xbf7d64f0, v30
	v_mul_f32_e32 v48, 0x3e903f40, v30
	v_fmamk_f32 v37, v29, 0xbe11bafb, v32
	v_fma_f32 v32, 0xbe11bafb, v29, -v32
	s_delay_alu instid0(VALU_DEP_1) | instskip(NEXT) | instid1(VALU_DEP_4)
	v_dual_add_f32 v37, v37, v45 :: v_dual_add_f32 v32, v32, v35
	v_fmamk_f32 v35, v29, 0xbf75a155, v48
	v_mul_f32_e32 v62, 0xbf7d64f0, v58
	v_mul_f32_e32 v46, 0x3e903f40, v58
	v_fma_f32 v48, 0xbf75a155, v29, -v48
	s_delay_alu instid0(VALU_DEP_4) | instskip(NEXT) | instid1(VALU_DEP_4)
	v_add_f32_e32 v35, v35, v51
	v_fma_f32 v31, 0xbe11bafb, v61, -v62
	s_delay_alu instid0(VALU_DEP_4) | instskip(SKIP_2) | instid1(VALU_DEP_4)
	v_fma_f32 v45, 0xbf75a155, v61, -v46
	v_add_f32_e32 v36, v63, v36
	v_sub_f32_e32 v63, v18, v4
	v_add_f32_e32 v31, v31, v53
	s_delay_alu instid0(VALU_DEP_4)
	v_add_f32_e32 v45, v45, v54
	v_mul_f32_e32 v53, 0x3f68dda4, v58
	v_mul_f32_e32 v54, 0x3f68dda4, v30
	;; [unrolled: 1-line block ×3, first 2 shown]
	v_add_f32_e32 v42, v48, v42
	v_mul_f32_e32 v30, 0xbf4178ce, v30
	v_fma_f32 v51, 0x3ed4b147, v61, -v53
	v_dual_fmac_f32 v53, 0x3ed4b147, v61 :: v_dual_fmamk_f32 v48, v29, 0x3ed4b147, v54
	s_delay_alu instid0(VALU_DEP_2) | instskip(SKIP_1) | instid1(VALU_DEP_3)
	v_add_f32_e32 v44, v51, v44
	v_fma_f32 v51, 0x3ed4b147, v29, -v54
	v_add_f32_e32 v49, v53, v49
	v_mul_f32_e32 v53, 0xbf4178ce, v58
	s_delay_alu instid0(VALU_DEP_3) | instskip(SKIP_1) | instid1(VALU_DEP_1)
	v_dual_add_f32 v48, v48, v50 :: v_dual_add_f32 v43, v51, v43
	v_fmamk_f32 v51, v29, 0x3f575c64, v60
	v_dual_add_f32 v51, v51, v52 :: v_dual_fmac_f32 v46, 0xbf75a155, v61
	s_delay_alu instid0(VALU_DEP_4) | instskip(NEXT) | instid1(VALU_DEP_2)
	v_fma_f32 v52, 0xbf27a4f4, v61, -v53
	v_dual_fmac_f32 v53, 0xbf27a4f4, v61 :: v_dual_add_f32 v46, v46, v47
	v_mul_f32_e32 v47, 0xbf0a6770, v58
	s_delay_alu instid0(VALU_DEP_1) | instskip(SKIP_2) | instid1(VALU_DEP_2)
	v_fma_f32 v54, 0x3f575c64, v61, -v47
	v_fmac_f32_e32 v47, 0x3f575c64, v61
	v_dual_fmac_f32 v62, 0xbe11bafb, v61 :: v_dual_sub_f32 v61, v13, v11
	v_add_f32_e32 v47, v47, v55
	s_delay_alu instid0(VALU_DEP_4) | instskip(SKIP_1) | instid1(VALU_DEP_4)
	v_dual_sub_f32 v55, v21, v27 :: v_dual_add_f32 v50, v54, v56
	v_fmamk_f32 v56, v29, 0xbf27a4f4, v30
	v_dual_add_f32 v34, v62, v34 :: v_dual_add_f32 v21, v27, v21
	v_add_f32_e32 v36, v53, v36
	s_delay_alu instid0(VALU_DEP_3) | instskip(SKIP_2) | instid1(VALU_DEP_1)
	v_dual_mul_f32 v62, 0x3f7d64f0, v67 :: v_dual_add_f32 v33, v56, v33
	v_add_f32_e32 v56, v26, v20
	v_sub_f32_e32 v20, v20, v26
	v_dual_mul_f32 v26, 0xbf4178ce, v55 :: v_dual_mul_f32 v27, 0xbf4178ce, v20
	v_add_f32_e32 v52, v52, v59
	v_sub_f32_e32 v59, v16, v6
	s_delay_alu instid0(VALU_DEP_3) | instskip(SKIP_1) | instid1(VALU_DEP_2)
	v_fmamk_f32 v53, v21, 0xbf27a4f4, v27
	v_fma_f32 v27, 0xbf27a4f4, v21, -v27
	v_dual_mul_f32 v58, 0xbf4178ce, v59 :: v_dual_add_f32 v37, v53, v37
	v_fma_f32 v54, 0x3f575c64, v29, -v60
	v_fma_f32 v29, 0xbf27a4f4, v29, -v30
	;; [unrolled: 1-line block ×3, first 2 shown]
	v_dual_add_f32 v27, v27, v32 :: v_dual_mul_f32 v32, 0xbf0a6770, v55
	v_mul_f32_e32 v60, 0x3e903f40, v63
	s_delay_alu instid0(VALU_DEP_4) | instskip(NEXT) | instid1(VALU_DEP_4)
	v_dual_add_f32 v28, v29, v28 :: v_dual_mul_f32 v29, 0x3f7d64f0, v55
	v_add_f32_e32 v30, v30, v31
	s_delay_alu instid0(VALU_DEP_2) | instskip(SKIP_2) | instid1(VALU_DEP_3)
	v_fma_f32 v31, 0xbe11bafb, v56, -v29
	v_dual_fmac_f32 v29, 0xbe11bafb, v56 :: v_dual_add_f32 v54, v54, v57
	v_mul_f32_e32 v53, 0x3f7d64f0, v20
	v_add_f32_e32 v31, v31, v45
	s_delay_alu instid0(VALU_DEP_3) | instskip(NEXT) | instid1(VALU_DEP_3)
	v_dual_add_f32 v29, v29, v46 :: v_dual_fmac_f32 v26, 0xbf27a4f4, v56
	v_fma_f32 v45, 0xbe11bafb, v21, -v53
	v_fma_f32 v57, 0x3f575c64, v56, -v32
	s_delay_alu instid0(VALU_DEP_3) | instskip(SKIP_1) | instid1(VALU_DEP_1)
	v_add_f32_e32 v26, v26, v34
	v_fmamk_f32 v34, v21, 0xbe11bafb, v53
	v_dual_mul_f32 v53, 0xbf0a6770, v20 :: v_dual_add_f32 v34, v34, v35
	v_add_f32_e32 v35, v45, v42
	s_delay_alu instid0(VALU_DEP_2) | instskip(SKIP_2) | instid1(VALU_DEP_3)
	v_fmamk_f32 v42, v21, 0x3f575c64, v53
	v_mul_f32_e32 v45, 0xbe903f40, v55
	v_fma_f32 v46, 0x3f575c64, v21, -v53
	v_add_f32_e32 v42, v42, v48
	v_mul_f32_e32 v48, 0xbe903f40, v20
	s_delay_alu instid0(VALU_DEP_4) | instskip(SKIP_3) | instid1(VALU_DEP_3)
	v_fma_f32 v53, 0xbf75a155, v56, -v45
	v_fmac_f32_e32 v45, 0xbf75a155, v56
	v_dual_fmac_f32 v32, 0x3f575c64, v56 :: v_dual_add_f32 v43, v46, v43
	v_mul_f32_e32 v46, 0x3f68dda4, v55
	v_dual_mul_f32 v20, 0x3f68dda4, v20 :: v_dual_add_f32 v45, v45, v47
	s_delay_alu instid0(VALU_DEP_3) | instskip(SKIP_1) | instid1(VALU_DEP_2)
	v_dual_add_f32 v32, v32, v49 :: v_dual_fmamk_f32 v49, v21, 0xbf75a155, v48
	v_fma_f32 v48, 0xbf75a155, v21, -v48
	v_add_f32_e32 v49, v49, v51
	v_dual_sub_f32 v51, v23, v25 :: v_dual_add_f32 v50, v53, v50
	v_fma_f32 v53, 0x3ed4b147, v56, -v46
	s_delay_alu instid0(VALU_DEP_4) | instskip(SKIP_2) | instid1(VALU_DEP_4)
	v_add_f32_e32 v47, v48, v54
	v_dual_add_f32 v23, v25, v23 :: v_dual_fmac_f32 v46, 0x3ed4b147, v56
	v_sub_f32_e32 v56, v2, v40
	v_add_f32_e32 v48, v53, v52
	v_dual_fmamk_f32 v52, v21, 0x3ed4b147, v20 :: v_dual_sub_f32 v53, v22, v24
	v_add_f32_e32 v22, v24, v22
	v_mul_f32_e32 v24, 0xbe903f40, v51
	s_delay_alu instid0(VALU_DEP_3) | instskip(SKIP_1) | instid1(VALU_DEP_3)
	v_dual_add_f32 v44, v57, v44 :: v_dual_add_f32 v25, v52, v33
	v_dual_add_f32 v36, v46, v36 :: v_dual_sub_f32 v57, v19, v5
	v_fma_f32 v33, 0xbf75a155, v22, -v24
	v_fmac_f32_e32 v24, 0xbf75a155, v22
	s_delay_alu instid0(VALU_DEP_2) | instskip(SKIP_1) | instid1(VALU_DEP_3)
	v_add_f32_e32 v68, v33, v30
	v_mul_f32_e32 v30, 0x3f0a6770, v53
	v_dual_add_f32 v70, v24, v26 :: v_dual_mul_f32 v33, 0xbf0a6770, v56
	s_delay_alu instid0(VALU_DEP_2) | instskip(NEXT) | instid1(VALU_DEP_1)
	v_fma_f32 v24, 0x3f575c64, v23, -v30
	v_add_f32_e32 v75, v24, v35
	v_fma_f32 v20, 0x3ed4b147, v21, -v20
	v_mul_f32_e32 v21, 0xbe903f40, v53
	v_mul_f32_e32 v24, 0x3f68dda4, v51
	s_delay_alu instid0(VALU_DEP_3) | instskip(NEXT) | instid1(VALU_DEP_3)
	v_dual_mul_f32 v35, 0xbf7d64f0, v63 :: v_dual_add_f32 v46, v20, v28
	v_fmamk_f32 v20, v23, 0xbf75a155, v21
	v_mul_f32_e32 v28, 0x3f0a6770, v51
	v_fma_f32 v21, 0xbf75a155, v23, -v21
	s_delay_alu instid0(VALU_DEP_3) | instskip(NEXT) | instid1(VALU_DEP_3)
	v_add_f32_e32 v69, v20, v37
	v_fma_f32 v20, 0x3f575c64, v22, -v28
	s_delay_alu instid0(VALU_DEP_3) | instskip(SKIP_1) | instid1(VALU_DEP_3)
	v_add_f32_e32 v71, v21, v27
	v_mul_f32_e32 v21, 0xbf4178ce, v51
	v_dual_mul_f32 v27, 0xbf4178ce, v53 :: v_dual_add_f32 v72, v20, v31
	v_fmamk_f32 v20, v23, 0x3f575c64, v30
	s_delay_alu instid0(VALU_DEP_3) | instskip(NEXT) | instid1(VALU_DEP_2)
	v_fma_f32 v26, 0xbf27a4f4, v22, -v21
	v_dual_add_f32 v73, v20, v34 :: v_dual_fmamk_f32 v20, v23, 0xbf27a4f4, v27
	s_delay_alu instid0(VALU_DEP_2)
	v_add_f32_e32 v76, v26, v44
	v_fma_f32 v26, 0xbf27a4f4, v23, -v27
	v_mul_f32_e32 v27, 0x3f68dda4, v53
	v_fmac_f32_e32 v21, 0xbf27a4f4, v22
	v_add_f32_e32 v77, v20, v42
	v_fma_f32 v20, 0x3ed4b147, v22, -v24
	v_add_f32_e32 v79, v26, v43
	v_mul_f32_e32 v26, 0xbf7d64f0, v51
	v_fmac_f32_e32 v24, 0x3ed4b147, v22
	v_sub_f32_e32 v44, v3, v41
	v_add_f32_e32 v80, v20, v50
	v_fma_f32 v20, 0x3ed4b147, v23, -v27
	v_sub_f32_e32 v50, v17, v7
	v_add_f32_e32 v82, v24, v45
	v_mul_f32_e32 v24, 0xbf7d64f0, v53
	v_mul_f32_e32 v37, 0xbf68dda4, v44
	v_add_f32_e32 v83, v20, v47
	v_dual_add_f32 v20, v40, v2 :: v_dual_mul_f32 v47, 0x3e903f40, v57
	v_dual_add_f32 v78, v21, v32 :: v_dual_fmamk_f32 v21, v23, 0x3ed4b147, v27
	v_fmamk_f32 v27, v23, 0xbe11bafb, v24
	v_fma_f32 v24, 0xbe11bafb, v23, -v24
	v_add_f32_e32 v23, v7, v17
	v_mul_f32_e32 v31, 0xbf68dda4, v50
	v_add_f32_e32 v81, v21, v49
	v_fma_f32 v21, 0xbe11bafb, v22, -v26
	v_add_f32_e32 v85, v27, v25
	v_fmamk_f32 v27, v20, 0x3ed4b147, v37
	v_fmac_f32_e32 v28, 0x3f575c64, v22
	v_mul_f32_e32 v49, 0xbf68dda4, v56
	v_add_f32_e32 v87, v24, v46
	v_add_f32_e32 v24, v4, v18
	;; [unrolled: 1-line block ×3, first 2 shown]
	v_dual_add_f32 v21, v41, v3 :: v_dual_add_f32 v74, v28, v29
	v_fma_f32 v42, 0xbf27a4f4, v23, -v58
	v_fmac_f32_e32 v26, 0xbe11bafb, v22
	v_mul_f32_e32 v46, 0xbf4178ce, v50
	s_delay_alu instid0(VALU_DEP_4) | instskip(SKIP_1) | instid1(VALU_DEP_2)
	v_fma_f32 v29, 0x3ed4b147, v21, -v49
	v_add_f32_e32 v27, v27, v0
	v_dual_add_f32 v29, v29, v1 :: v_dual_mul_f32 v28, 0xbf0a6770, v44
	s_delay_alu instid0(VALU_DEP_1) | instskip(NEXT) | instid1(VALU_DEP_1)
	v_dual_add_f32 v29, v42, v29 :: v_dual_fmamk_f32 v22, v20, 0x3f575c64, v28
	v_add_f32_e32 v25, v22, v0
	v_add_f32_e32 v22, v6, v16
	s_delay_alu instid0(VALU_DEP_1) | instskip(SKIP_1) | instid1(VALU_DEP_2)
	v_fmamk_f32 v34, v22, 0xbf27a4f4, v46
	v_fmamk_f32 v30, v22, 0x3ed4b147, v31
	v_dual_add_f32 v27, v34, v27 :: v_dual_fmamk_f32 v34, v24, 0xbf75a155, v47
	s_delay_alu instid0(VALU_DEP_2) | instskip(NEXT) | instid1(VALU_DEP_2)
	v_dual_add_f32 v30, v30, v25 :: v_dual_add_f32 v25, v5, v19
	v_dual_add_f32 v48, v34, v27 :: v_dual_add_f32 v27, v11, v13
	v_add_f32_e32 v86, v26, v36
	v_fma_f32 v26, 0x3f575c64, v21, -v33
	v_mul_f32_e32 v36, 0xbf68dda4, v59
	v_fma_f32 v51, 0xbf75a155, v25, -v60
	v_fma_f32 v45, 0xbe11bafb, v25, -v35
	v_mul_f32_e32 v34, 0xbf4178ce, v61
	v_add_f32_e32 v26, v26, v1
	v_fma_f32 v32, 0x3ed4b147, v23, -v36
	v_add_f32_e32 v29, v51, v29
	s_delay_alu instid0(VALU_DEP_2) | instskip(SKIP_1) | instid1(VALU_DEP_2)
	v_dual_mul_f32 v51, 0x3f0a6770, v64 :: v_dual_add_f32 v26, v32, v26
	v_mul_f32_e32 v32, 0xbf7d64f0, v57
	v_add_f32_e32 v42, v45, v26
	v_dual_add_f32 v26, v10, v12 :: v_dual_mul_f32 v45, 0x3f7d64f0, v61
	s_delay_alu instid0(VALU_DEP_1) | instskip(NEXT) | instid1(VALU_DEP_1)
	v_dual_fmamk_f32 v43, v24, 0xbe11bafb, v32 :: v_dual_fmamk_f32 v54, v26, 0xbe11bafb, v45
	v_dual_add_f32 v30, v43, v30 :: v_dual_mul_f32 v43, 0xbf4178ce, v67
	s_delay_alu instid0(VALU_DEP_2) | instskip(SKIP_1) | instid1(VALU_DEP_3)
	v_add_f32_e32 v88, v54, v48
	v_mul_lo_u16 v54, v174, 11
	v_fma_f32 v53, 0xbf27a4f4, v27, -v43
	v_mul_f32_e32 v48, 0xbe903f40, v66
	s_delay_alu instid0(VALU_DEP_3) | instskip(NEXT) | instid1(VALU_DEP_3)
	v_and_b32_e32 v93, 0xffff, v54
	v_dual_fmamk_f32 v52, v26, 0xbf27a4f4, v34 :: v_dual_add_f32 v53, v53, v42
	v_mul_f32_e32 v42, 0xbe903f40, v64
	s_delay_alu instid0(VALU_DEP_3) | instskip(NEXT) | instid1(VALU_DEP_3)
	v_lshlrev_b32_e32 v176, 3, v93
	v_add_f32_e32 v52, v52, v30
	v_fma_f32 v30, 0xbe11bafb, v27, -v62
	ds_store_2addr_b64 v176, v[38:39], v[68:69] offset1:1
	ds_store_2addr_b64 v176, v[72:73], v[76:77] offset0:2 offset1:3
	ds_store_2addr_b64 v176, v[80:81], v[84:85] offset0:4 offset1:5
	;; [unrolled: 1-line block ×4, first 2 shown]
	ds_store_b64 v176, v[70:71] offset:80
	v_add_f32_e32 v89, v30, v29
	v_dual_add_f32 v29, v8, v14 :: v_dual_add_f32 v30, v9, v15
	s_delay_alu instid0(VALU_DEP_1) | instskip(SKIP_1) | instid1(VALU_DEP_3)
	v_fmamk_f32 v91, v29, 0x3f575c64, v51
	v_fmamk_f32 v55, v29, 0xbf75a155, v42
	v_fma_f32 v90, 0xbf75a155, v30, -v48
	v_fma_f32 v92, 0x3f575c64, v30, -v65
	s_delay_alu instid0(VALU_DEP_2) | instskip(NEXT) | instid1(VALU_DEP_2)
	v_dual_add_f32 v54, v55, v52 :: v_dual_add_f32 v55, v90, v53
	v_dual_add_f32 v52, v91, v88 :: v_dual_add_f32 v53, v92, v89
	s_and_saveexec_b32 s0, vcc_lo
	s_cbranch_execz .LBB0_7
; %bb.6:
	v_mul_f32_e32 v93, 0x3f7d64f0, v50
	v_dual_mul_f32 v68, 0xbf27a4f4, v21 :: v_dual_mul_f32 v85, 0xbf27a4f4, v27
	v_mul_f32_e32 v70, 0xbe11bafb, v23
	v_mul_f32_e32 v98, 0xbe903f40, v56
	s_delay_alu instid0(VALU_DEP_4)
	v_fmamk_f32 v95, v22, 0xbe11bafb, v93
	v_mul_f32_e32 v90, 0xbf4178ce, v44
	v_mul_f32_e32 v84, 0xbf27a4f4, v26
	;; [unrolled: 1-line block ×3, first 2 shown]
	v_fmamk_f32 v100, v21, 0xbf75a155, v98
	v_dual_mul_f32 v74, 0x3ed4b147, v20 :: v_dual_mul_f32 v75, 0x3ed4b147, v21
	v_fmamk_f32 v69, v20, 0xbf27a4f4, v90
	v_fmamk_f32 v38, v56, 0x3f4178ce, v68
	v_fmac_f32_e32 v68, 0xbf4178ce, v56
	v_fmamk_f32 v39, v59, 0xbf7d64f0, v70
	v_mul_f32_e32 v107, 0x3f0a6770, v50
	s_delay_alu instid0(VALU_DEP_4)
	v_dual_add_f32 v69, v69, v0 :: v_dual_add_f32 v38, v38, v1
	v_mul_f32_e32 v71, 0x3f575c64, v25
	v_add_f32_e32 v100, v100, v1
	v_fmamk_f32 v102, v66, 0xbf68dda4, v99
	v_add_f32_e32 v68, v68, v1
	v_add_f32_e32 v38, v39, v38
	v_fmamk_f32 v39, v63, 0x3f0a6770, v71
	v_mul_f32_e32 v91, 0xbf75a155, v27
	v_fma_f32 v109, 0x3f575c64, v22, -v107
	v_dual_mul_f32 v105, 0xbf4178ce, v63 :: v_dual_mul_f32 v110, 0xbf4178ce, v57
	s_delay_alu instid0(VALU_DEP_4) | instskip(NEXT) | instid1(VALU_DEP_4)
	v_add_f32_e32 v38, v39, v38
	v_fmamk_f32 v39, v67, 0x3e903f40, v91
	v_mul_f32_e32 v97, 0xbf0a6770, v57
	v_mul_f32_e32 v56, 0xbf7d64f0, v56
	v_dual_mul_f32 v78, 0xbf27a4f4, v22 :: v_dual_mul_f32 v79, 0xbf27a4f4, v23
	s_delay_alu instid0(VALU_DEP_4)
	v_add_f32_e32 v38, v39, v38
	v_mul_f32_e32 v92, 0x3f575c64, v29
	v_add_f32_e32 v39, v95, v69
	v_dual_fmamk_f32 v69, v24, 0x3f575c64, v97 :: v_dual_mul_f32 v94, 0x3f575c64, v30
	v_mul_f32_e32 v95, 0xbe903f40, v61
	v_fma_f32 v90, 0xbf27a4f4, v20, -v90
	v_add_f32_e32 v49, v49, v75
	s_delay_alu instid0(VALU_DEP_4) | instskip(SKIP_2) | instid1(VALU_DEP_4)
	v_add_f32_e32 v69, v69, v39
	v_dual_add_f32 v39, v102, v38 :: v_dual_mul_f32 v102, 0xbe903f40, v44
	v_fmamk_f32 v103, v26, 0xbf75a155, v95
	v_dual_fmac_f32 v70, 0x3f7d64f0, v59 :: v_dual_add_f32 v49, v49, v1
	v_mul_f32_e32 v44, 0xbf7d64f0, v44
	s_delay_alu instid0(VALU_DEP_4) | instskip(NEXT) | instid1(VALU_DEP_4)
	v_fma_f32 v106, 0xbf75a155, v20, -v102
	v_dual_add_f32 v38, v103, v69 :: v_dual_mul_f32 v103, 0x3f68dda4, v67
	v_fma_f32 v93, 0xbe11bafb, v22, -v93
	v_dual_add_f32 v70, v70, v68 :: v_dual_fmac_f32 v71, 0xbf0a6770, v63
	s_delay_alu instid0(VALU_DEP_4) | instskip(SKIP_2) | instid1(VALU_DEP_3)
	v_dual_add_f32 v106, v106, v0 :: v_dual_mul_f32 v101, 0x3f0a6770, v59
	v_mul_f32_e32 v63, 0x3f68dda4, v63
	v_dual_mul_f32 v82, 0xbf75a155, v24 :: v_dual_mul_f32 v83, 0xbf75a155, v25
	v_add_f32_e32 v106, v109, v106
	s_delay_alu instid0(VALU_DEP_4) | instskip(SKIP_3) | instid1(VALU_DEP_4)
	v_fmamk_f32 v104, v23, 0x3f575c64, v101
	v_add_f32_e32 v90, v90, v0
	v_dual_add_f32 v70, v71, v70 :: v_dual_fmac_f32 v91, 0xbe903f40, v67
	v_fma_f32 v109, 0xbf27a4f4, v24, -v110
	v_add_f32_e32 v69, v104, v100
	v_mul_f32_e32 v104, 0x3f68dda4, v64
	v_add_f32_e32 v90, v93, v90
	v_add_f32_e32 v70, v91, v70
	v_fmamk_f32 v100, v25, 0xbf27a4f4, v105
	v_fma_f32 v93, 0x3f575c64, v24, -v97
	v_fmamk_f32 v111, v29, 0x3ed4b147, v104
	v_dual_mul_f32 v86, 0xbe11bafb, v26 :: v_dual_mul_f32 v87, 0xbe11bafb, v27
	s_delay_alu instid0(VALU_DEP_4) | instskip(SKIP_1) | instid1(VALU_DEP_4)
	v_dual_add_f32 v69, v100, v69 :: v_dual_fmamk_f32 v100, v27, 0x3ed4b147, v103
	v_mul_f32_e32 v108, 0xbf7d64f0, v66
	v_dual_add_f32 v38, v111, v38 :: v_dual_mul_f32 v111, 0x3f68dda4, v61
	v_add_f32_e32 v71, v93, v90
	s_delay_alu instid0(VALU_DEP_3) | instskip(SKIP_3) | instid1(VALU_DEP_4)
	v_dual_add_f32 v69, v100, v69 :: v_dual_fmamk_f32 v100, v30, 0xbe11bafb, v108
	v_fma_f32 v90, 0xbf75a155, v26, -v95
	v_fma_f32 v95, 0x3ed4b147, v29, -v104
	v_dual_add_f32 v3, v3, v1 :: v_dual_add_f32 v2, v2, v0
	v_dual_add_f32 v69, v100, v69 :: v_dual_add_f32 v100, v109, v106
	v_fma_f32 v106, 0x3ed4b147, v26, -v111
	v_dual_mul_f32 v109, 0xbf7d64f0, v64 :: v_dual_add_f32 v90, v90, v71
	v_fmamk_f32 v93, v21, 0xbe11bafb, v56
	v_dual_mul_f32 v72, 0x3f575c64, v20 :: v_dual_mul_f32 v73, 0x3f575c64, v21
	s_delay_alu instid0(VALU_DEP_4) | instskip(NEXT) | instid1(VALU_DEP_4)
	v_add_f32_e32 v100, v106, v100
	v_fma_f32 v106, 0xbe11bafb, v29, -v109
	v_mul_f32_e32 v59, 0x3e903f40, v59
	v_add_f32_e32 v91, v93, v1
	v_dual_sub_f32 v47, v82, v47 :: v_dual_add_f32 v2, v16, v2
	s_delay_alu instid0(VALU_DEP_3) | instskip(SKIP_3) | instid1(VALU_DEP_4)
	v_dual_add_f32 v68, v106, v100 :: v_dual_fmamk_f32 v93, v23, 0xbf75a155, v59
	v_dual_sub_f32 v37, v74, v37 :: v_dual_mul_f32 v76, 0x3ed4b147, v22
	v_dual_mul_f32 v77, 0x3ed4b147, v23 :: v_dual_sub_f32 v46, v78, v46
	v_add_f32_e32 v33, v33, v73
	v_add_f32_e32 v91, v93, v91
	v_fmamk_f32 v93, v25, 0x3ed4b147, v63
	v_fmac_f32_e32 v99, 0x3f68dda4, v66
	v_mul_f32_e32 v67, 0xbf0a6770, v67
	v_add_f32_e32 v58, v58, v79
	v_dual_mul_f32 v80, 0xbe11bafb, v24 :: v_dual_mul_f32 v81, 0xbe11bafb, v25
	s_delay_alu instid0(VALU_DEP_4)
	v_add_f32_e32 v71, v99, v70
	v_add_f32_e32 v70, v95, v90
	v_fma_f32 v90, 0xbe11bafb, v20, -v44
	v_dual_mul_f32 v95, 0x3e903f40, v50 :: v_dual_add_f32 v50, v93, v91
	v_fmamk_f32 v75, v27, 0x3f575c64, v67
	v_add_f32_e32 v49, v58, v49
	s_delay_alu instid0(VALU_DEP_4) | instskip(NEXT) | instid1(VALU_DEP_4)
	v_add_f32_e32 v90, v90, v0
	v_fma_f32 v91, 0xbf75a155, v22, -v95
	v_add_f32_e32 v58, v60, v83
	v_mul_f32_e32 v60, 0xbf4178ce, v66
	v_dual_mul_f32 v57, 0x3f68dda4, v57 :: v_dual_add_f32 v50, v75, v50
	s_delay_alu instid0(VALU_DEP_4) | instskip(SKIP_1) | instid1(VALU_DEP_3)
	v_dual_add_f32 v75, v91, v90 :: v_dual_mul_f32 v64, 0xbf4178ce, v64
	v_add_f32_e32 v65, v65, v94
	v_fma_f32 v79, 0x3ed4b147, v24, -v57
	v_mul_f32_e32 v61, 0xbf0a6770, v61
	v_add_f32_e32 v33, v33, v1
	v_fma_f32 v74, 0xbf27a4f4, v29, -v64
	v_add_f32_e32 v36, v36, v77
	v_add_f32_e32 v66, v79, v75
	v_fma_f32 v75, 0x3f575c64, v26, -v61
	v_add_f32_e32 v49, v58, v49
	v_add_f32_e32 v58, v62, v87
	v_dual_fmamk_f32 v62, v30, 0xbf27a4f4, v60 :: v_dual_add_f32 v3, v17, v3
	s_delay_alu instid0(VALU_DEP_4) | instskip(NEXT) | instid1(VALU_DEP_3)
	v_dual_add_f32 v66, v75, v66 :: v_dual_add_f32 v75, v37, v0
	v_add_f32_e32 v58, v58, v49
	s_delay_alu instid0(VALU_DEP_3) | instskip(SKIP_1) | instid1(VALU_DEP_4)
	v_dual_add_f32 v50, v62, v50 :: v_dual_add_f32 v33, v36, v33
	v_add_f32_e32 v2, v18, v2
	v_add_f32_e32 v49, v74, v66
	s_delay_alu instid0(VALU_DEP_4) | instskip(NEXT) | instid1(VALU_DEP_3)
	v_dual_add_f32 v37, v65, v58 :: v_dual_add_f32 v46, v46, v75
	v_dual_sub_f32 v45, v86, v45 :: v_dual_add_f32 v2, v12, v2
	v_add_f32_e32 v18, v43, v85
	v_dual_mul_f32 v88, 0xbf75a155, v29 :: v_dual_mul_f32 v89, 0xbf75a155, v30
	s_delay_alu instid0(VALU_DEP_4) | instskip(SKIP_2) | instid1(VALU_DEP_3)
	v_add_f32_e32 v46, v47, v46
	v_dual_add_f32 v16, v35, v81 :: v_dual_sub_f32 v35, v92, v51
	v_dual_fmac_f32 v102, 0xbf75a155, v20 :: v_dual_fmac_f32 v95, 0xbf75a155, v22
	v_add_f32_e32 v17, v45, v46
	s_delay_alu instid0(VALU_DEP_3) | instskip(SKIP_1) | instid1(VALU_DEP_3)
	v_dual_add_f32 v3, v19, v3 :: v_dual_add_f32 v16, v16, v33
	v_fmac_f32_e32 v57, 0x3ed4b147, v24
	v_dual_fmac_f32 v107, 0x3f575c64, v22 :: v_dual_add_f32 v36, v35, v17
	s_delay_alu instid0(VALU_DEP_3) | instskip(NEXT) | instid1(VALU_DEP_4)
	v_dual_add_f32 v3, v13, v3 :: v_dual_sub_f32 v12, v72, v28
	v_dual_add_f32 v13, v18, v16 :: v_dual_add_f32 v16, v48, v89
	s_delay_alu instid0(VALU_DEP_2) | instskip(NEXT) | instid1(VALU_DEP_3)
	v_dual_add_f32 v2, v14, v2 :: v_dual_add_f32 v15, v15, v3
	v_dual_add_f32 v12, v12, v0 :: v_dual_fmac_f32 v111, 0x3ed4b147, v26
	s_delay_alu instid0(VALU_DEP_3) | instskip(SKIP_1) | instid1(VALU_DEP_4)
	v_add_f32_e32 v3, v16, v13
	v_sub_f32_e32 v13, v80, v32
	v_add_f32_e32 v9, v9, v15
	v_dual_sub_f32 v14, v76, v31 :: v_dual_fmac_f32 v61, 0x3f575c64, v26
	v_fmac_f32_e32 v64, 0xbf27a4f4, v29
	s_delay_alu instid0(VALU_DEP_2) | instskip(NEXT) | instid1(VALU_DEP_1)
	v_dual_add_f32 v9, v11, v9 :: v_dual_add_f32 v12, v14, v12
	v_dual_add_f32 v5, v5, v9 :: v_dual_add_f32 v2, v8, v2
	s_delay_alu instid0(VALU_DEP_2) | instskip(SKIP_1) | instid1(VALU_DEP_3)
	v_add_f32_e32 v11, v13, v12
	v_fma_f32 v8, 0xbf75a155, v21, -v98
	v_dual_sub_f32 v12, v84, v34 :: v_dual_add_f32 v5, v7, v5
	s_delay_alu instid0(VALU_DEP_4) | instskip(SKIP_1) | instid1(VALU_DEP_4)
	v_add_f32_e32 v2, v10, v2
	v_fma_f32 v10, 0x3f575c64, v23, -v101
	v_add_f32_e32 v8, v8, v1
	s_delay_alu instid0(VALU_DEP_4) | instskip(NEXT) | instid1(VALU_DEP_4)
	v_add_f32_e32 v9, v12, v11
	v_dual_add_f32 v5, v41, v5 :: v_dual_add_f32 v2, v4, v2
	v_lshlrev_b32_e32 v12, 3, v175
	s_delay_alu instid0(VALU_DEP_4) | instskip(SKIP_1) | instid1(VALU_DEP_1)
	v_add_f32_e32 v4, v10, v8
	v_fma_f32 v8, 0xbf27a4f4, v25, -v105
	v_dual_add_f32 v6, v6, v2 :: v_dual_add_f32 v7, v8, v4
	v_fma_f32 v8, 0x3ed4b147, v27, -v103
	s_delay_alu instid0(VALU_DEP_2) | instskip(NEXT) | instid1(VALU_DEP_2)
	v_add_f32_e32 v4, v40, v6
	v_add_f32_e32 v6, v8, v7
	v_fma_f32 v7, 0xbe11bafb, v21, -v56
	v_sub_f32_e32 v10, v88, v42
	v_fma_f32 v8, 0xbe11bafb, v30, -v108
	s_delay_alu instid0(VALU_DEP_3) | instskip(SKIP_1) | instid1(VALU_DEP_4)
	v_add_f32_e32 v1, v7, v1
	v_fma_f32 v7, 0xbf75a155, v23, -v59
	v_add_f32_e32 v2, v10, v9
	v_add_f32_e32 v9, v102, v0
	v_fma_f32 v10, 0xbf27a4f4, v30, -v60
	s_delay_alu instid0(VALU_DEP_4) | instskip(SKIP_1) | instid1(VALU_DEP_4)
	v_add_f32_e32 v1, v7, v1
	v_fma_f32 v7, 0x3ed4b147, v25, -v63
	v_dual_add_f32 v9, v107, v9 :: v_dual_fmac_f32 v110, 0xbf27a4f4, v24
	s_delay_alu instid0(VALU_DEP_2) | instskip(NEXT) | instid1(VALU_DEP_2)
	v_dual_add_f32 v1, v7, v1 :: v_dual_fmac_f32 v44, 0xbe11bafb, v20
	v_add_f32_e32 v9, v110, v9
	v_fma_f32 v7, 0x3f575c64, v27, -v67
	s_delay_alu instid0(VALU_DEP_2) | instskip(NEXT) | instid1(VALU_DEP_2)
	v_dual_add_f32 v0, v44, v0 :: v_dual_add_f32 v9, v111, v9
	v_add_f32_e32 v7, v7, v1
	s_delay_alu instid0(VALU_DEP_1) | instskip(NEXT) | instid1(VALU_DEP_1)
	v_dual_add_f32 v0, v95, v0 :: v_dual_add_f32 v7, v10, v7
	v_add_f32_e32 v0, v57, v0
	s_delay_alu instid0(VALU_DEP_1) | instskip(SKIP_2) | instid1(VALU_DEP_3)
	v_add_f32_e32 v11, v61, v0
	v_fmac_f32_e32 v109, 0xbe11bafb, v29
	v_add_f32_e32 v1, v8, v6
	v_add_f32_e32 v6, v64, v11
	s_delay_alu instid0(VALU_DEP_3)
	v_add_f32_e32 v0, v109, v9
	ds_store_2addr_b64 v12, v[4:5], v[2:3] offset1:1
	ds_store_2addr_b64 v12, v[36:37], v[49:50] offset0:2 offset1:3
	ds_store_2addr_b64 v12, v[70:71], v[68:69] offset0:4 offset1:5
	;; [unrolled: 1-line block ×4, first 2 shown]
	ds_store_b64 v12, v[54:55] offset:80
.LBB0_7:
	s_wait_alu 0xfffe
	s_or_b32 exec_lo, exec_lo, s0
	v_add_nc_u32_e32 v0, 0x400, v173
	v_add_nc_u32_e32 v1, 0xc00, v173
	;; [unrolled: 1-line block ×3, first 2 shown]
	global_wb scope:SCOPE_SE
	s_wait_dscnt 0x0
	s_barrier_signal -1
	s_barrier_wait -1
	global_inv scope:SCOPE_SE
	ds_load_2addr_b64 v[44:47], v173 offset1:55
	v_add_nc_u32_e32 v3, 0x1800, v173
	ds_load_2addr_b64 v[76:79], v0 offset0:103 offset1:158
	ds_load_2addr_b64 v[72:75], v1 offset0:78 offset1:133
	v_add_nc_u32_e32 v0, 0x800, v173
	v_add_nc_u32_e32 v1, 0x2000, v173
	ds_load_2addr_b64 v[84:87], v2 offset0:181 offset1:236
	ds_load_2addr_b64 v[80:83], v3 offset0:156 offset1:211
	;; [unrolled: 1-line block ×7, first 2 shown]
	v_cmp_gt_u16_e64 s0, 11, v174
                                        ; implicit-def: $vgpr8
                                        ; implicit-def: $vgpr94
	s_delay_alu instid0(VALU_DEP_1)
	s_and_saveexec_b32 s1, s0
	s_cbranch_execz .LBB0_9
; %bb.8:
	v_add_nc_u32_e32 v0, 0x680, v173
	ds_load_2addr_b64 v[52:55], v0 offset0:12 offset1:243
	v_add_nc_u32_e32 v0, 0x1500, v173
	ds_load_b64 v[94:95], v173 offset:9152
	ds_load_2addr_b64 v[8:11], v0 offset0:10 offset1:241
.LBB0_9:
	s_wait_alu 0xfffe
	s_or_b32 exec_lo, exec_lo, s1
	v_add_co_u32 v88, s1, 0xdc, v174
	v_and_b32_e32 v1, 0xff, v174
	v_and_b32_e32 v2, 0xff, v96
	s_wait_alu 0xf1ff
	v_add_co_ci_u32_e64 v89, null, 0, 0, s1
	v_and_b32_e32 v0, 0xffff, v88
	v_mul_lo_u16 v1, 0x75, v1
	v_add_co_u32 v92, s1, 0x6e, v174
	s_wait_alu 0xf1ff
	v_add_co_ci_u32_e64 v93, null, 0, 0, s1
	v_mul_u32_u24_e32 v0, 0xba2f, v0
	v_lshrrev_b16 v1, 8, v1
	v_add_co_u32 v90, s1, 0xa5, v174
	s_wait_alu 0xf1ff
	v_add_co_ci_u32_e64 v91, null, 0, 0, s1
	v_lshrrev_b32_e32 v0, 19, v0
	s_delay_alu instid0(VALU_DEP_1) | instskip(NEXT) | instid1(VALU_DEP_1)
	v_mul_lo_u16 v0, v0, 11
	v_sub_nc_u16 v98, v88, v0
	v_mul_lo_u16 v0, 0x75, v2
	v_sub_nc_u16 v2, v174, v1
	s_delay_alu instid0(VALU_DEP_3) | instskip(NEXT) | instid1(VALU_DEP_3)
	v_lshlrev_b16 v3, 2, v98
	v_lshrrev_b16 v12, 8, v0
	s_delay_alu instid0(VALU_DEP_3) | instskip(NEXT) | instid1(VALU_DEP_3)
	v_lshrrev_b16 v0, 1, v2
	v_and_b32_e32 v2, 0xffff, v3
	s_delay_alu instid0(VALU_DEP_3) | instskip(NEXT) | instid1(VALU_DEP_3)
	v_sub_nc_u16 v3, v96, v12
	v_and_b32_e32 v0, 0x7f, v0
	s_delay_alu instid0(VALU_DEP_3) | instskip(NEXT) | instid1(VALU_DEP_3)
	v_lshlrev_b32_e32 v4, 3, v2
	v_lshrrev_b16 v13, 1, v3
	s_delay_alu instid0(VALU_DEP_3)
	v_add_nc_u16 v14, v0, v1
	s_clause 0x1
	global_load_b128 v[0:3], v4, s[2:3] offset:16
	global_load_b128 v[4:7], v4, s[2:3]
	v_and_b32_e32 v13, 0x7f, v13
	v_lshrrev_b16 v111, 3, v14
	v_and_b32_e32 v97, 0xff, v92
	s_delay_alu instid0(VALU_DEP_2) | instskip(SKIP_1) | instid1(VALU_DEP_1)
	v_mul_lo_u16 v14, v111, 11
	v_and_b32_e32 v111, 0xffff, v111
	v_mul_u32_u24_e32 v111, 55, v111
	s_wait_loadcnt_dscnt 0x101
	v_mul_f32_e32 v99, v94, v3
	s_wait_loadcnt 0x0
	v_mul_f32_e32 v100, v54, v5
	s_wait_dscnt 0x0
	v_mul_f32_e32 v104, v9, v7
	v_add_nc_u16 v12, v13, v12
	v_mul_f32_e32 v112, v55, v5
	v_mul_f32_e32 v113, v11, v1
	v_mul_lo_u16 v13, 0x75, v97
	v_mul_f32_e32 v101, v8, v7
	v_lshrrev_b16 v108, 3, v12
	v_sub_nc_u16 v12, v174, v14
	v_mul_f32_e32 v102, v10, v1
	v_lshrrev_b16 v13, 8, v13
	v_fma_f32 v104, v8, v6, -v104
	v_mul_lo_u16 v15, v108, 11
	v_and_b32_e32 v109, 0xff, v12
	v_fmac_f32_e32 v99, v95, v2
	v_dual_fmac_f32 v101, v9, v6 :: v_dual_fmac_f32 v100, v55, v4
	s_delay_alu instid0(VALU_DEP_4) | instskip(NEXT) | instid1(VALU_DEP_4)
	v_sub_nc_u16 v15, v96, v15
	v_lshlrev_b32_e32 v16, 5, v109
	v_fma_f32 v55, v10, v0, -v113
	s_delay_alu instid0(VALU_DEP_4) | instskip(NEXT) | instid1(VALU_DEP_4)
	v_dual_fmac_f32 v102, v11, v0 :: v_dual_sub_f32 v9, v100, v99
	v_and_b32_e32 v103, 0xff, v15
	global_load_b128 v[40:43], v16, s[2:3]
	v_mul_f32_e32 v114, v95, v3
	v_fma_f32 v95, v54, v4, -v112
	global_load_b128 v[36:39], v16, s[2:3] offset:16
	v_lshlrev_b32_e32 v17, 5, v103
	v_add_f32_e32 v115, v101, v102
	v_fma_f32 v54, v94, v2, -v114
	v_dual_sub_f32 v113, v104, v95 :: v_dual_and_b32 v14, 0xff, v90
	s_clause 0x1
	global_load_b128 v[32:35], v17, s[2:3]
	global_load_b128 v[28:31], v17, s[2:3] offset:16
	v_sub_f32_e32 v11, v54, v55
	v_mul_lo_u16 v12, 0x75, v14
	v_sub_nc_u16 v14, v92, v13
	v_add_f32_e32 v112, v95, v54
	v_sub_f32_e32 v114, v55, v54
	v_sub_f32_e32 v118, v100, v101
	v_lshrrev_b16 v12, 8, v12
	v_lshrrev_b16 v14, 1, v14
	v_add_f32_e32 v120, v100, v99
	v_fma_f32 v170, -0.5, v115, v53
	v_sub_f32_e32 v117, v104, v55
	v_sub_nc_u16 v15, v90, v12
	v_and_b32_e32 v14, 0x7f, v14
	v_add_f32_e32 v8, v104, v55
	v_sub_f32_e32 v94, v101, v102
	v_sub_f32_e32 v119, v99, v102
	v_lshrrev_b16 v15, 1, v15
	v_add_nc_u16 v13, v14, v13
	v_fma_f32 v169, -0.5, v8, v52
	s_delay_alu instid0(VALU_DEP_3) | instskip(NEXT) | instid1(VALU_DEP_3)
	v_and_b32_e32 v14, 0x7f, v15
	v_lshrrev_b16 v110, 3, v13
	s_delay_alu instid0(VALU_DEP_3) | instskip(SKIP_1) | instid1(VALU_DEP_4)
	v_fmamk_f32 v171, v9, 0x3f737871, v169
	v_fmac_f32_e32 v169, 0xbf737871, v9
	v_add_nc_u16 v12, v14, v12
	s_delay_alu instid0(VALU_DEP_4) | instskip(NEXT) | instid1(VALU_DEP_4)
	v_mul_lo_u16 v13, v110, 11
	v_fmac_f32_e32 v171, 0x3f167918, v94
	s_delay_alu instid0(VALU_DEP_3) | instskip(NEXT) | instid1(VALU_DEP_3)
	v_lshrrev_b16 v107, 3, v12
	v_sub_nc_u16 v12, v92, v13
	s_delay_alu instid0(VALU_DEP_2) | instskip(NEXT) | instid1(VALU_DEP_2)
	v_mul_lo_u16 v13, v107, 11
	v_and_b32_e32 v106, 0xff, v12
	s_delay_alu instid0(VALU_DEP_2) | instskip(NEXT) | instid1(VALU_DEP_2)
	v_sub_nc_u16 v12, v90, v13
	v_lshlrev_b32_e32 v13, 5, v106
	s_delay_alu instid0(VALU_DEP_2)
	v_and_b32_e32 v105, 0xff, v12
	global_load_b128 v[24:27], v13, s[2:3]
	v_sub_f32_e32 v10, v95, v104
	v_lshlrev_b32_e32 v12, 5, v105
	s_clause 0x2
	global_load_b128 v[20:23], v13, s[2:3] offset:16
	global_load_b128 v[16:19], v12, s[2:3]
	global_load_b128 v[12:15], v12, s[2:3] offset:16
	global_wb scope:SCOPE_SE
	s_wait_loadcnt 0x0
	s_barrier_signal -1
	s_barrier_wait -1
	global_inv scope:SCOPE_SE
	v_mul_f32_e32 v121, v77, v41
	v_dual_mul_f32 v122, v76, v41 :: v_dual_mul_f32 v123, v73, v43
	v_dual_mul_f32 v124, v72, v43 :: v_dual_mul_f32 v125, v85, v37
	v_dual_mul_f32 v126, v84, v37 :: v_dual_mul_f32 v127, v81, v39
	v_mul_f32_e32 v128, v80, v39
	v_dual_sub_f32 v116, v95, v54 :: v_dual_add_f32 v137, v10, v11
	v_mul_f32_e32 v129, v79, v33
	v_dual_mul_f32 v130, v78, v33 :: v_dual_mul_f32 v131, v75, v35
	v_dual_mul_f32 v132, v74, v35 :: v_dual_mul_f32 v133, v87, v29
	;; [unrolled: 1-line block ×3, first 2 shown]
	v_mul_f32_e32 v136, v82, v31
	v_fma_f32 v10, -0.5, v112, v52
	v_add_f32_e32 v112, v113, v114
	v_fma_f32 v11, -0.5, v120, v53
	v_fma_f32 v76, v76, v40, -v121
	v_fmac_f32_e32 v122, v77, v40
	v_fma_f32 v72, v72, v42, -v123
	v_fmac_f32_e32 v124, v73, v42
	v_fma_f32 v73, v84, v36, -v125
	v_fma_f32 v77, v80, v38, -v127
	;; [unrolled: 1-line block ×4, first 2 shown]
	v_fmamk_f32 v8, v94, 0xbf737871, v10
	v_fmac_f32_e32 v10, 0x3f737871, v94
	v_fmamk_f32 v172, v116, 0xbf737871, v170
	v_dual_fmac_f32 v170, 0x3f737871, v116 :: v_dual_add_f32 v129, v46, v78
	v_fmac_f32_e32 v171, 0x3e9e377a, v137
	v_dual_mul_f32 v113, v71, v17 :: v_dual_fmac_f32 v128, v81, v38
	v_dual_mul_f32 v81, v68, v25 :: v_dual_fmac_f32 v132, v75, v34
	v_fma_f32 v75, v86, v28, -v133
	v_mul_f32_e32 v86, v57, v23
	v_dual_mul_f32 v115, v67, v19 :: v_dual_fmac_f32 v126, v85, v36
	v_mul_f32_e32 v127, v58, v15
	v_dual_mul_f32 v85, v60, v21 :: v_dual_fmac_f32 v136, v83, v30
	v_dual_mul_f32 v83, v64, v27 :: v_dual_fmac_f32 v130, v79, v32
	v_fmac_f32_e32 v134, v87, v28
	v_fma_f32 v79, v82, v30, -v135
	v_dual_mul_f32 v82, v65, v27 :: v_dual_fmac_f32 v127, v59, v14
	v_dual_mul_f32 v87, v56, v23 :: v_dual_mul_f32 v114, v70, v17
	v_mul_f32_e32 v121, v63, v13
	v_mul_f32_e32 v123, v62, v13
	;; [unrolled: 1-line block ×3, first 2 shown]
	v_dual_mul_f32 v84, v61, v21 :: v_dual_mul_f32 v125, v59, v15
	v_dual_mul_f32 v120, v66, v19 :: v_dual_fmac_f32 v81, v69, v24
	v_fma_f32 v69, v64, v26, -v82
	v_fmac_f32_e32 v83, v65, v26
	v_fmac_f32_e32 v85, v61, v20
	v_dual_fmac_f32 v87, v57, v22 :: v_dual_fmac_f32 v114, v71, v16
	v_add_f32_e32 v65, v124, v126
	v_fma_f32 v82, v62, v12, -v121
	v_fmac_f32_e32 v123, v63, v12
	v_fma_f32 v68, v68, v24, -v80
	v_fma_f32 v80, v60, v20, -v84
	;; [unrolled: 1-line block ×4, first 2 shown]
	v_add_f32_e32 v57, v72, v73
	v_fma_f32 v84, v56, v22, -v86
	v_fma_f32 v86, v58, v14, -v125
	v_add_f32_e32 v56, v44, v76
	v_sub_f32_e32 v113, v122, v128
	v_sub_f32_e32 v115, v124, v126
	v_dual_fmac_f32 v120, v67, v18 :: v_dual_sub_f32 v121, v72, v73
	v_dual_sub_f32 v58, v76, v72 :: v_dual_add_f32 v131, v74, v75
	v_sub_f32_e32 v59, v77, v73
	v_add_f32_e32 v61, v76, v77
	v_dual_sub_f32 v62, v72, v76 :: v_dual_sub_f32 v139, v79, v75
	v_dual_add_f32 v64, v45, v122 :: v_dual_add_f32 v71, v122, v128
	v_dual_sub_f32 v76, v76, v77 :: v_dual_sub_f32 v125, v126, v128
	v_dual_sub_f32 v66, v122, v124 :: v_dual_sub_f32 v67, v128, v126
	v_dual_sub_f32 v122, v124, v122 :: v_dual_sub_f32 v133, v130, v136
	v_dual_sub_f32 v135, v132, v134 :: v_dual_add_f32 v140, v78, v79
	v_dual_sub_f32 v141, v74, v78 :: v_dual_sub_f32 v142, v75, v79
	v_add_f32_e32 v143, v47, v130
	v_dual_add_f32 v177, v132, v134 :: v_dual_sub_f32 v178, v74, v75
	v_dual_sub_f32 v179, v130, v132 :: v_dual_sub_f32 v180, v136, v134
	v_dual_add_f32 v181, v130, v136 :: v_dual_sub_f32 v130, v132, v130
	v_dual_sub_f32 v63, v73, v77 :: v_dual_sub_f32 v138, v78, v74
	v_sub_f32_e32 v78, v78, v79
	v_dual_sub_f32 v182, v134, v136 :: v_dual_fmac_f32 v169, 0xbf167918, v94
	v_fmac_f32_e32 v10, 0xbf167918, v9
	s_delay_alu instid0(VALU_DEP_4)
	v_dual_fmac_f32 v8, 0x3f167918, v9 :: v_dual_add_f32 v183, v62, v63
	v_dual_fmac_f32 v172, 0xbf167918, v117 :: v_dual_add_f32 v9, v56, v72
	v_fma_f32 v56, -0.5, v57, v44
	v_add_f32_e32 v94, v58, v59
	v_fma_f32 v44, -0.5, v61, v44
	v_add_f32_e32 v61, v64, v124
	v_fma_f32 v57, -0.5, v65, v45
	v_dual_add_f32 v124, v66, v67 :: v_dual_add_f32 v65, v143, v132
	v_fma_f32 v45, -0.5, v71, v45
	v_add_f32_e32 v122, v122, v125
	v_dual_add_f32 v64, v129, v74 :: v_dual_add_f32 v125, v138, v139
	v_fma_f32 v58, -0.5, v131, v46
	v_fma_f32 v46, -0.5, v140, v46
	v_add_f32_e32 v129, v141, v142
	v_fma_f32 v59, -0.5, v177, v47
	v_add_f32_e32 v131, v179, v180
	v_dual_fmac_f32 v47, -0.5, v181 :: v_dual_add_f32 v130, v130, v182
	v_dual_add_f32 v71, v48, v68 :: v_dual_sub_f32 v132, v81, v87
	v_dual_add_f32 v72, v69, v80 :: v_dual_add_f32 v177, v83, v85
	v_dual_add_f32 v140, v68, v84 :: v_dual_add_f32 v143, v49, v81
	v_dual_sub_f32 v142, v80, v84 :: v_dual_sub_f32 v181, v81, v83
	v_sub_f32_e32 v180, v69, v80
	v_dual_add_f32 v184, v81, v87 :: v_dual_add_f32 v187, v70, v82
	v_sub_f32_e32 v81, v83, v81
	v_dual_sub_f32 v185, v85, v87 :: v_dual_add_f32 v186, v50, v60
	v_dual_sub_f32 v191, v86, v82 :: v_dual_add_f32 v196, v120, v123
	v_dual_add_f32 v192, v60, v86 :: v_dual_sub_f32 v199, v114, v120
	v_dual_add_f32 v201, v114, v127 :: v_dual_sub_f32 v138, v83, v85
	v_sub_f32_e32 v139, v84, v80
	v_dual_sub_f32 v74, v68, v69 :: v_dual_sub_f32 v141, v69, v68
	v_dual_sub_f32 v179, v68, v84 :: v_dual_sub_f32 v182, v87, v85
	v_dual_sub_f32 v188, v114, v127 :: v_dual_add_f32 v195, v51, v114
	v_dual_sub_f32 v189, v120, v123 :: v_dual_sub_f32 v194, v82, v86
	v_dual_sub_f32 v190, v60, v70 :: v_dual_sub_f32 v193, v70, v60
	;; [unrolled: 1-line block ×3, first 2 shown]
	v_sub_f32_e32 v198, v70, v82
	v_sub_f32_e32 v114, v120, v114
	v_dual_fmac_f32 v8, 0x3e9e377a, v112 :: v_dual_add_f32 v9, v9, v73
	v_dual_fmac_f32 v10, 0x3e9e377a, v112 :: v_dual_add_f32 v73, v61, v126
	v_fmamk_f32 v60, v113, 0x3f737871, v56
	v_dual_fmac_f32 v56, 0xbf737871, v113 :: v_dual_fmamk_f32 v61, v76, 0xbf737871, v57
	v_fmamk_f32 v62, v115, 0xbf737871, v44
	v_dual_fmac_f32 v44, 0x3f737871, v115 :: v_dual_fmamk_f32 v63, v121, 0x3f737871, v45
	v_fmac_f32_e32 v57, 0x3f737871, v76
	v_fmac_f32_e32 v45, 0xbf737871, v121
	v_dual_add_f32 v75, v64, v75 :: v_dual_fmamk_f32 v64, v133, 0x3f737871, v58
	v_dual_add_f32 v112, v65, v134 :: v_dual_fmamk_f32 v67, v178, 0x3f737871, v47
	v_add_f32_e32 v126, v71, v69
	v_fma_f32 v68, -0.5, v72, v48
	v_fma_f32 v48, -0.5, v140, v48
	v_dual_add_f32 v83, v143, v83 :: v_dual_add_f32 v140, v81, v185
	v_fma_f32 v69, -0.5, v177, v49
	v_fma_f32 v49, -0.5, v184, v49
	v_dual_add_f32 v81, v186, v70 :: v_dual_add_f32 v120, v195, v120
	v_fma_f32 v70, -0.5, v187, v50
	v_fma_f32 v50, -0.5, v192, v50
	;; [unrolled: 1-line block ×3, first 2 shown]
	v_dual_fmac_f32 v51, -0.5, v201 :: v_dual_fmac_f32 v60, 0x3f167918, v115
	v_dual_sub_f32 v202, v123, v127 :: v_dual_fmac_f32 v169, 0x3e9e377a, v137
	v_dual_fmamk_f32 v66, v135, 0xbf737871, v46 :: v_dual_fmac_f32 v47, 0xbf737871, v178
	v_fmac_f32_e32 v46, 0x3f737871, v135
	v_dual_add_f32 v134, v74, v139 :: v_dual_add_f32 v139, v181, v182
	v_add_f32_e32 v137, v141, v142
	v_dual_add_f32 v72, v9, v77 :: v_dual_fmac_f32 v63, 0xbf167918, v76
	v_dual_fmac_f32 v56, 0xbf167918, v115 :: v_dual_add_f32 v73, v73, v128
	v_dual_fmac_f32 v62, 0x3f167918, v113 :: v_dual_fmac_f32 v45, 0x3f167918, v76
	v_fmac_f32_e32 v44, 0xbf167918, v113
	v_dual_fmac_f32 v61, 0xbf167918, v121 :: v_dual_add_f32 v74, v75, v79
	v_add_f32_e32 v75, v112, v136
	v_dual_add_f32 v9, v126, v80 :: v_dual_fmamk_f32 v76, v132, 0x3f737871, v68
	v_dual_fmac_f32 v68, 0xbf737871, v132 :: v_dual_add_f32 v85, v83, v85
	v_dual_fmamk_f32 v79, v180, 0x3f737871, v49 :: v_dual_add_f32 v112, v81, v82
	v_dual_fmac_f32 v49, 0xbf737871, v180 :: v_dual_fmamk_f32 v82, v189, 0xbf737871, v50
	v_dual_fmac_f32 v50, 0x3f737871, v189 :: v_dual_fmamk_f32 v83, v198, 0x3f737871, v51
	;; [unrolled: 1-line block ×3, first 2 shown]
	v_fmac_f32_e32 v59, 0x3f737871, v78
	v_dual_fmac_f32 v57, 0x3f167918, v121 :: v_dual_fmac_f32 v64, 0x3f167918, v135
	v_dual_fmac_f32 v46, 0xbf167918, v133 :: v_dual_fmac_f32 v67, 0xbf167918, v78
	v_dual_fmac_f32 v47, 0x3f167918, v78 :: v_dual_add_f32 v84, v9, v84
	v_dual_fmamk_f32 v78, v138, 0xbf737871, v48 :: v_dual_fmamk_f32 v77, v179, 0xbf737871, v69
	v_dual_fmac_f32 v48, 0x3f737871, v138 :: v_dual_fmac_f32 v69, 0x3f737871, v179
	v_dual_fmamk_f32 v81, v197, 0xbf737871, v71 :: v_dual_add_f32 v86, v112, v86
	v_fmac_f32_e32 v51, 0xbf737871, v198
	v_dual_fmac_f32 v60, 0x3e9e377a, v94 :: v_dual_fmac_f32 v61, 0x3e9e377a, v124
	v_dual_fmac_f32 v56, 0x3e9e377a, v94 :: v_dual_fmac_f32 v57, 0x3e9e377a, v124
	v_dual_fmac_f32 v83, 0xbf167918, v197 :: v_dual_sub_f32 v112, v102, v99
	v_fmamk_f32 v9, v117, 0x3f737871, v11
	v_dual_sub_f32 v94, v101, v100 :: v_dual_fmac_f32 v11, 0xbf737871, v117
	v_dual_fmac_f32 v78, 0x3f167918, v132 :: v_dual_fmac_f32 v49, 0x3f167918, v179
	v_dual_fmac_f32 v48, 0xbf167918, v132 :: v_dual_fmac_f32 v79, 0xbf167918, v179
	s_delay_alu instid0(VALU_DEP_3) | instskip(NEXT) | instid1(VALU_DEP_4)
	v_dual_fmac_f32 v51, 0x3f167918, v197 :: v_dual_add_f32 v94, v94, v112
	v_dual_fmac_f32 v170, 0x3f167918, v117 :: v_dual_fmac_f32 v11, 0x3f167918, v116
	v_fmac_f32_e32 v9, 0xbf167918, v116
	v_add_lshl_u32 v179, v111, v109, 3
	v_dual_add_f32 v141, v190, v191 :: v_dual_add_f32 v142, v193, v194
	v_dual_fmamk_f32 v80, v188, 0x3f737871, v70 :: v_dual_fmac_f32 v71, 0x3f737871, v197
	v_dual_fmac_f32 v70, 0xbf737871, v188 :: v_dual_add_f32 v113, v120, v123
	v_dual_fmac_f32 v62, 0x3e9e377a, v183 :: v_dual_fmac_f32 v63, 0x3e9e377a, v122
	v_dual_fmac_f32 v44, 0x3e9e377a, v183 :: v_dual_fmac_f32 v45, 0x3e9e377a, v122
	s_delay_alu instid0(VALU_DEP_4)
	v_dual_fmac_f32 v82, 0x3f167918, v188 :: v_dual_fmac_f32 v71, 0x3f167918, v198
	v_fmac_f32_e32 v9, 0x3e9e377a, v94
	v_fmac_f32_e32 v11, 0x3e9e377a, v94
	v_and_b32_e32 v94, 0xffff, v108
	v_and_b32_e32 v108, 0xffff, v110
	ds_store_2addr_b64 v179, v[72:73], v[60:61] offset1:11
	v_dual_add_f32 v143, v199, v200 :: v_dual_and_b32 v60, 0xffff, v107
	v_add_f32_e32 v114, v114, v202
	v_dual_fmac_f32 v58, 0xbf167918, v135 :: v_dual_fmac_f32 v65, 0xbf167918, v178
	v_dual_fmac_f32 v76, 0x3f167918, v138 :: v_dual_add_f32 v85, v85, v87
	v_dual_fmac_f32 v68, 0xbf167918, v138 :: v_dual_fmac_f32 v77, 0xbf167918, v180
	v_dual_fmac_f32 v69, 0x3f167918, v180 :: v_dual_fmac_f32 v80, 0x3f167918, v189
	v_dual_fmac_f32 v70, 0xbf167918, v189 :: v_dual_add_f32 v87, v113, v127
	v_dual_fmac_f32 v82, 0x3e9e377a, v142 :: v_dual_add_f32 v113, v118, v119
	v_mul_u32_u24_e32 v94, 55, v94
	v_mul_u32_u24_e32 v61, 55, v108
	ds_store_2addr_b64 v179, v[62:63], v[44:45] offset0:22 offset1:33
	ds_store_b64 v179, v[56:57] offset:352
	v_mul_u32_u24_e32 v44, 55, v60
	v_dual_fmac_f32 v66, 0x3f167918, v133 :: v_dual_fmac_f32 v59, 0x3f167918, v178
	v_dual_fmac_f32 v50, 0xbf167918, v188 :: v_dual_fmac_f32 v81, 0xbf167918, v198
	;; [unrolled: 1-line block ×7, first 2 shown]
	v_add_lshl_u32 v182, v94, v103, 3
	v_add_lshl_u32 v181, v61, v106, 3
	;; [unrolled: 1-line block ×3, first 2 shown]
	v_and_b32_e32 v177, 0xffff, v98
	v_dual_fmac_f32 v66, 0x3e9e377a, v129 :: v_dual_fmac_f32 v67, 0x3e9e377a, v130
	v_dual_fmac_f32 v46, 0x3e9e377a, v129 :: v_dual_fmac_f32 v47, 0x3e9e377a, v130
	;; [unrolled: 1-line block ×6, first 2 shown]
	v_fmac_f32_e32 v50, 0x3e9e377a, v142
	v_dual_fmac_f32 v70, 0x3e9e377a, v141 :: v_dual_fmac_f32 v71, 0x3e9e377a, v143
	ds_store_2addr_b64 v182, v[74:75], v[64:65] offset1:11
	ds_store_2addr_b64 v182, v[66:67], v[46:47] offset0:22 offset1:33
	ds_store_b64 v182, v[58:59] offset:352
	ds_store_2addr_b64 v181, v[84:85], v[76:77] offset1:11
	ds_store_2addr_b64 v181, v[78:79], v[48:49] offset0:22 offset1:33
	ds_store_b64 v181, v[68:69] offset:352
	;; [unrolled: 3-line block ×3, first 2 shown]
	s_and_saveexec_b32 s1, s0
	s_cbranch_execz .LBB0_11
; %bb.10:
	v_dual_add_f32 v44, v53, v100 :: v_dual_add_f32 v45, v52, v95
	s_delay_alu instid0(VALU_DEP_1) | instskip(SKIP_1) | instid1(VALU_DEP_2)
	v_dual_add_f32 v44, v44, v101 :: v_dual_add_f32 v45, v45, v104
	v_lshlrev_b32_e32 v46, 3, v177
	v_dual_add_f32 v44, v44, v102 :: v_dual_add_f32 v47, v45, v55
	s_delay_alu instid0(VALU_DEP_1) | instskip(NEXT) | instid1(VALU_DEP_2)
	v_dual_add_f32 v45, v44, v99 :: v_dual_add_nc_u32 v48, 0x2000, v46
	v_add_f32_e32 v44, v47, v54
	ds_store_2addr_b64 v48, v[8:9], v[10:11] offset0:98 offset1:109
	ds_store_2addr_b64 v48, v[44:45], v[171:172] offset0:76 offset1:87
	ds_store_b64 v46, v[169:170] offset:9152
.LBB0_11:
	s_wait_alu 0xfffe
	s_or_b32 exec_lo, exec_lo, s1
	v_mad_co_u64_u32 v[44:45], null, v174, 48, s[2:3]
	global_wb scope:SCOPE_SE
	s_wait_dscnt 0x0
	s_barrier_signal -1
	s_barrier_wait -1
	global_inv scope:SCOPE_SE
	v_mul_lo_u16 v56, 0x95, v97
	v_lshlrev_b64_e32 v[106:107], 4, v[92:93]
	s_clause 0x2
	global_load_b128 v[52:55], v[44:45], off offset:352
	global_load_b128 v[48:51], v[44:45], off offset:368
	;; [unrolled: 1-line block ×3, first 2 shown]
	v_add_nc_u32_e32 v117, 0x800, v173
	v_add_nc_u32_e32 v111, 0x1000, v173
	v_lshrrev_b16 v56, 13, v56
	v_lshlrev_b64_e32 v[122:123], 4, v[90:91]
	v_add_nc_u32_e32 v116, 0x400, v173
	v_lshlrev_b64_e32 v[124:125], 4, v[88:89]
	s_delay_alu instid0(VALU_DEP_4) | instskip(NEXT) | instid1(VALU_DEP_1)
	v_mul_lo_u16 v56, v56, 55
	v_sub_nc_u16 v56, v92, v56
	s_delay_alu instid0(VALU_DEP_1) | instskip(NEXT) | instid1(VALU_DEP_1)
	v_and_b32_e32 v87, 0xff, v56
	v_mad_co_u64_u32 v[56:57], null, v87, 48, s[2:3]
	s_clause 0x2
	global_load_b128 v[64:67], v[56:57], off offset:352
	global_load_b128 v[60:63], v[56:57], off offset:368
	global_load_b128 v[56:59], v[56:57], off offset:384
	ds_load_2addr_b64 v[72:75], v173 offset1:55
	ds_load_2addr_b64 v[68:71], v173 offset0:110 offset1:165
	ds_load_2addr_b64 v[79:82], v117 offset0:74 offset1:129
	;; [unrolled: 1-line block ×3, first 2 shown]
	v_add_nc_u32_e32 v110, 0x1800, v173
	v_add_nc_u32_e32 v108, 0x1c00, v173
	ds_load_b64 v[76:77], v173 offset:8800
	s_wait_loadcnt_dscnt 0x502
	v_dual_mul_f32 v89, v80, v55 :: v_dual_lshlrev_b32 v78, 4, v174
	v_mul_f32_e32 v128, v79, v55
	ds_load_2addr_b64 v[83:86], v117 offset0:184 offset1:239
	v_lshlrev_b32_e32 v109, 4, v96
	ds_load_2addr_b64 v[94:97], v110 offset0:2 offset1:57
	s_wait_loadcnt_dscnt 0x403
	v_mul_f32_e32 v131, v91, v51
	v_mul_f32_e32 v132, v90, v51
	ds_load_2addr_b64 v[98:101], v108 offset0:94 offset1:149
	ds_load_2addr_b64 v[102:105], v116 offset0:92 offset1:147
	;; [unrolled: 1-line block ×4, first 2 shown]
	v_mul_f32_e32 v88, v70, v53
	v_dual_mul_f32 v87, v71, v53 :: v_dual_lshlrev_b32 v178, 3, v87
	v_mul_f32_e32 v140, v81, v55
	v_mul_f32_e32 v183, v92, v51
	;; [unrolled: 1-line block ×3, first 2 shown]
	global_wb scope:SCOPE_SE
	s_wait_loadcnt_dscnt 0x0
	v_fma_f32 v70, v70, v52, -v87
	s_barrier_signal -1
	s_barrier_wait -1
	global_inv scope:SCOPE_SE
	v_dual_mul_f32 v143, v93, v51 :: v_dual_fmac_f32 v88, v71, v52
	v_fma_f32 v71, v79, v54, -v89
	v_dual_mul_f32 v129, v86, v49 :: v_dual_add_nc_u32 v126, 0x1800, v178
	v_mul_f32_e32 v133, v97, v45
	v_dual_mul_f32 v134, v96, v45 :: v_dual_add_nc_u32 v127, 0x1c00, v178
	v_dual_mul_f32 v130, v85, v49 :: v_dual_mul_f32 v135, v99, v47
	v_dual_mul_f32 v136, v98, v47 :: v_dual_mul_f32 v137, v103, v53
	v_mul_f32_e32 v138, v102, v53
	v_dual_mul_f32 v185, v118, v45 :: v_dual_mul_f32 v186, v101, v47
	s_delay_alu instid0(VALU_DEP_4)
	v_dual_mul_f32 v187, v100, v47 :: v_dual_fmac_f32 v130, v86, v48
	v_mul_f32_e32 v141, v113, v49
	v_mul_f32_e32 v142, v112, v49
	;; [unrolled: 1-line block ×3, first 2 shown]
	v_fma_f32 v79, v85, v48, -v129
	v_fma_f32 v85, v96, v44, -v133
	v_fmac_f32_e32 v128, v80, v54
	v_fma_f32 v80, v90, v50, -v131
	v_fmac_f32_e32 v134, v97, v44
	v_fma_f32 v86, v98, v46, -v135
	v_fma_f32 v87, v102, v52, -v137
	v_dual_fmac_f32 v138, v103, v52 :: v_dual_fmac_f32 v183, v93, v50
	v_fmac_f32_e32 v185, v119, v44
	v_fmac_f32_e32 v187, v101, v46
	;; [unrolled: 1-line block ×4, first 2 shown]
	v_fma_f32 v91, v100, v46, -v186
	v_fma_f32 v81, v81, v54, -v139
	v_dual_fmac_f32 v140, v82, v54 :: v_dual_add_f32 v97, v79, v80
	v_fma_f32 v82, v112, v48, -v141
	v_fma_f32 v89, v92, v50, -v143
	;; [unrolled: 1-line block ×3, first 2 shown]
	v_dual_add_f32 v92, v70, v86 :: v_dual_add_f32 v99, v87, v91
	v_dual_sub_f32 v70, v70, v86 :: v_dual_sub_f32 v87, v87, v91
	v_dual_sub_f32 v79, v80, v79 :: v_dual_fmac_f32 v142, v113, v48
	v_sub_f32_e32 v91, v138, v187
	v_add_f32_e32 v93, v88, v136
	v_sub_f32_e32 v86, v88, v136
	v_dual_add_f32 v88, v71, v85 :: v_dual_add_f32 v101, v81, v90
	v_dual_sub_f32 v71, v71, v85 :: v_dual_add_f32 v96, v128, v134
	v_add_f32_e32 v103, v82, v89
	v_dual_sub_f32 v85, v128, v134 :: v_dual_add_f32 v98, v130, v132
	v_sub_f32_e32 v81, v81, v90
	s_delay_alu instid0(VALU_DEP_4)
	v_dual_sub_f32 v80, v132, v130 :: v_dual_add_f32 v129, v79, v71
	v_add_f32_e32 v100, v138, v187
	v_add_f32_e32 v102, v140, v185
	v_dual_sub_f32 v90, v140, v185 :: v_dual_sub_f32 v131, v79, v71
	v_dual_add_f32 v112, v142, v183 :: v_dual_add_f32 v113, v88, v92
	v_dual_sub_f32 v82, v89, v82 :: v_dual_sub_f32 v119, v88, v92
	v_dual_sub_f32 v89, v183, v142 :: v_dual_add_f32 v118, v96, v93
	v_dual_sub_f32 v79, v70, v79 :: v_dual_sub_f32 v128, v96, v93
	v_dual_sub_f32 v133, v71, v70 :: v_dual_sub_f32 v92, v92, v97
	v_sub_f32_e32 v93, v93, v98
	v_sub_f32_e32 v88, v97, v88
	v_dual_sub_f32 v96, v98, v96 :: v_dual_add_f32 v71, v101, v99
	v_dual_add_f32 v130, v80, v85 :: v_dual_sub_f32 v135, v101, v99
	v_sub_f32_e32 v132, v80, v85
	v_dual_sub_f32 v80, v86, v80 :: v_dual_sub_f32 v101, v103, v101
	v_dual_sub_f32 v85, v85, v86 :: v_dual_add_f32 v134, v102, v100
	v_dual_sub_f32 v136, v102, v100 :: v_dual_add_f32 v97, v97, v113
	v_dual_sub_f32 v99, v99, v103 :: v_dual_sub_f32 v100, v100, v112
	v_dual_add_f32 v137, v82, v81 :: v_dual_sub_f32 v102, v112, v102
	v_dual_sub_f32 v139, v82, v81 :: v_dual_add_f32 v138, v89, v90
	v_dual_mul_f32 v93, 0x3f4a47b2, v93 :: v_dual_sub_f32 v140, v89, v90
	v_dual_sub_f32 v81, v81, v87 :: v_dual_add_f32 v98, v98, v118
	v_dual_mul_f32 v141, 0x3f5ff5aa, v85 :: v_dual_sub_f32 v82, v87, v82
	v_dual_sub_f32 v89, v91, v89 :: v_dual_sub_f32 v90, v90, v91
	v_add_f32_e32 v113, v129, v70
	v_dual_add_f32 v86, v130, v86 :: v_dual_add_f32 v103, v103, v71
	v_dual_mul_f32 v92, 0x3f4a47b2, v92 :: v_dual_add_f32 v87, v137, v87
	v_dual_mul_f32 v118, 0x3d64c772, v88 :: v_dual_add_f32 v91, v138, v91
	v_mul_f32_e32 v129, 0x3d64c772, v96
	v_dual_mul_f32 v130, 0xbf08b237, v131 :: v_dual_mul_f32 v131, 0xbf08b237, v132
	v_dual_mul_f32 v132, 0x3f5ff5aa, v133 :: v_dual_mul_f32 v185, v83, v67
	v_dual_add_f32 v112, v112, v134 :: v_dual_mul_f32 v99, 0x3f4a47b2, v99
	v_dual_mul_f32 v100, 0x3f4a47b2, v100 :: v_dual_mul_f32 v143, v105, v65
	v_dual_mul_f32 v134, 0x3d64c772, v101 :: v_dual_mul_f32 v137, 0x3d64c772, v102
	;; [unrolled: 1-line block ×3, first 2 shown]
	v_mul_f32_e32 v139, 0xbf08b237, v140
	v_dual_mul_f32 v140, 0x3f5ff5aa, v81 :: v_dual_mul_f32 v189, v94, v63
	v_dual_mul_f32 v184, v84, v67 :: v_dual_add_f32 v71, v73, v98
	v_dual_mul_f32 v186, v115, v61 :: v_dual_mul_f32 v193, v76, v59
	v_add_f32_e32 v70, v72, v97
	v_dual_mul_f32 v142, 0x3f5ff5aa, v90 :: v_dual_mul_f32 v187, v114, v61
	v_dual_mul_f32 v188, v95, v63 :: v_dual_mul_f32 v191, v120, v57
	v_mul_f32_e32 v190, v121, v57
	v_dual_mul_f32 v192, v77, v59 :: v_dual_add_f32 v73, v75, v112
	v_dual_fmamk_f32 v88, v88, 0x3d64c772, v92 :: v_dual_fmac_f32 v183, v105, v64
	v_fma_f32 v118, 0x3f3bfb3b, v119, -v118
	v_fma_f32 v129, 0x3f3bfb3b, v128, -v129
	;; [unrolled: 1-line block ×3, first 2 shown]
	v_fmamk_f32 v119, v79, 0x3eae86e6, v130
	v_fma_f32 v130, 0x3f5ff5aa, v133, -v130
	v_fma_f32 v85, 0x3f5ff5aa, v85, -v131
	v_dual_add_f32 v72, v74, v103 :: v_dual_fmac_f32 v185, v84, v66
	v_fmamk_f32 v75, v102, 0x3d64c772, v100
	v_fma_f32 v133, 0x3f5ff5aa, v81, -v138
	v_fmac_f32_e32 v193, v77, v58
	v_fmamk_f32 v77, v97, 0xbf955555, v70
	v_fmamk_f32 v96, v96, 0x3d64c772, v93
	v_fma_f32 v93, 0xbf3bfb3b, v128, -v93
	v_fmamk_f32 v128, v80, 0x3eae86e6, v131
	v_fma_f32 v131, 0xbeae86e6, v79, -v132
	v_fma_f32 v132, 0xbeae86e6, v80, -v141
	;; [unrolled: 1-line block ×4, first 2 shown]
	v_fmamk_f32 v90, v98, 0xbf955555, v71
	v_fmamk_f32 v74, v101, 0x3d64c772, v99
	v_fma_f32 v99, 0xbf3bfb3b, v135, -v99
	v_fmamk_f32 v101, v82, 0x3eae86e6, v138
	v_fma_f32 v135, 0xbeae86e6, v82, -v140
	v_fma_f32 v80, 0x3f3bfb3b, v136, -v137
	;; [unrolled: 1-line block ×6, first 2 shown]
	v_dual_fmac_f32 v187, v115, v60 :: v_dual_fmac_f32 v128, 0x3ee1c552, v86
	v_fma_f32 v84, v94, v62, -v188
	v_dual_fmac_f32 v191, v121, v56 :: v_dual_fmac_f32 v132, 0x3ee1c552, v86
	v_fma_f32 v76, v76, v58, -v192
	v_dual_fmac_f32 v85, 0x3ee1c552, v86 :: v_dual_fmac_f32 v134, 0x3ee1c552, v91
	v_fmamk_f32 v86, v103, 0xbf955555, v72
	v_fmamk_f32 v94, v112, 0xbf955555, v73
	v_fmac_f32_e32 v101, 0x3ee1c552, v87
	v_dual_fmac_f32 v133, 0x3ee1c552, v87 :: v_dual_add_f32 v92, v92, v77
	v_fmac_f32_e32 v135, 0x3ee1c552, v87
	v_dual_add_f32 v87, v88, v77 :: v_dual_fmamk_f32 v102, v89, 0x3eae86e6, v139
	v_add_f32_e32 v97, v74, v86
	v_fma_f32 v89, v120, v56, -v190
	v_fma_f32 v83, v114, v60, -v186
	v_dual_fmac_f32 v189, v95, v62 :: v_dual_fmac_f32 v130, 0x3ee1c552, v113
	v_dual_fmac_f32 v119, 0x3ee1c552, v113 :: v_dual_fmac_f32 v102, 0x3ee1c552, v91
	;; [unrolled: 1-line block ×3, first 2 shown]
	v_dual_add_f32 v91, v118, v77 :: v_dual_add_f32 v88, v96, v90
	v_add_f32_e32 v95, v129, v90
	v_add_f32_e32 v90, v93, v90
	v_dual_add_f32 v98, v75, v94 :: v_dual_add_f32 v103, v81, v76
	v_dual_add_f32 v93, v79, v86 :: v_dual_add_f32 v114, v185, v191
	v_dual_add_f32 v96, v80, v94 :: v_dual_sub_f32 v105, v81, v76
	v_dual_add_f32 v99, v99, v86 :: v_dual_sub_f32 v118, v185, v191
	v_dual_add_f32 v100, v100, v94 :: v_dual_add_f32 v113, v82, v89
	v_dual_add_f32 v104, v183, v193 :: v_dual_sub_f32 v129, v84, v83
	v_dual_sub_f32 v115, v82, v89 :: v_dual_add_f32 v120, v83, v84
	v_dual_add_f32 v121, v187, v189 :: v_dual_add_f32 v74, v128, v87
	v_dual_sub_f32 v75, v88, v119 :: v_dual_sub_f32 v82, v95, v130
	v_dual_add_f32 v76, v132, v92 :: v_dual_sub_f32 v77, v90, v131
	v_dual_sub_f32 v79, v91, v85 :: v_dual_add_f32 v80, v130, v95
	v_dual_add_f32 v81, v85, v91 :: v_dual_add_f32 v84, v131, v90
	v_sub_f32_e32 v83, v92, v132
	v_dual_sub_f32 v85, v87, v128 :: v_dual_sub_f32 v90, v100, v135
	v_dual_add_f32 v86, v119, v88 :: v_dual_add_f32 v87, v102, v97
	v_dual_add_f32 v89, v136, v99 :: v_dual_add_f32 v92, v133, v96
	v_dual_sub_f32 v91, v93, v134 :: v_dual_sub_f32 v94, v96, v133
	v_dual_add_f32 v93, v134, v93 :: v_dual_add_f32 v96, v135, v100
	v_sub_f32_e32 v95, v99, v136
	v_dual_sub_f32 v97, v97, v102 :: v_dual_add_f32 v100, v114, v104
	v_dual_add_f32 v99, v113, v103 :: v_dual_sub_f32 v102, v114, v104
	v_dual_sub_f32 v112, v183, v193 :: v_dual_sub_f32 v137, v189, v187
	v_sub_f32_e32 v88, v98, v101
	v_add_f32_e32 v98, v101, v98
	v_dual_sub_f32 v101, v113, v103 :: v_dual_sub_f32 v104, v104, v121
	s_delay_alu instid0(VALU_DEP_4)
	v_dual_add_f32 v119, v129, v115 :: v_dual_sub_f32 v132, v112, v137
	v_dual_add_f32 v99, v120, v99 :: v_dual_add_f32 v100, v121, v100
	v_dual_sub_f32 v113, v120, v113 :: v_dual_add_f32 v128, v137, v118
	v_dual_sub_f32 v130, v129, v115 :: v_dual_sub_f32 v115, v115, v105
	v_sub_f32_e32 v129, v105, v129
	v_dual_add_f32 v105, v119, v105 :: v_dual_mul_f32 v104, 0x3f4a47b2, v104
	v_dual_add_f32 v68, v68, v99 :: v_dual_add_f32 v69, v69, v100
	v_dual_sub_f32 v103, v103, v120 :: v_dual_sub_f32 v114, v121, v114
	v_dual_sub_f32 v131, v137, v118 :: v_dual_sub_f32 v118, v118, v112
	ds_store_2addr_b64 v173, v[70:71], v[74:75] offset1:55
	ds_store_2addr_b64 v173, v[76:77], v[79:80] offset0:110 offset1:165
	ds_store_2addr_b64 v116, v[81:82], v[83:84] offset0:92 offset1:147
	;; [unrolled: 1-line block ×5, first 2 shown]
	v_fma_f32 v75, 0xbf3bfb3b, v102, -v104
	v_dual_fmamk_f32 v83, v99, 0xbf955555, v68 :: v_dual_fmamk_f32 v84, v100, 0xbf955555, v69
	v_dual_add_f32 v112, v128, v112 :: v_dual_mul_f32 v119, 0x3d64c772, v113
	v_mul_f32_e32 v120, 0x3d64c772, v114
	v_dual_mul_f32 v121, 0xbf08b237, v130 :: v_dual_mul_f32 v128, 0xbf08b237, v131
	s_delay_alu instid0(VALU_DEP_4)
	v_dual_fmamk_f32 v71, v114, 0x3d64c772, v104 :: v_dual_add_f32 v88, v75, v84
	v_mul_f32_e32 v103, 0x3f4a47b2, v103
	v_dual_mul_f32 v130, 0x3f5ff5aa, v115 :: v_dual_mul_f32 v131, 0x3f5ff5aa, v118
	v_fma_f32 v72, 0x3f3bfb3b, v101, -v119
	v_dual_fmamk_f32 v82, v129, 0x3eae86e6, v121 :: v_dual_fmamk_f32 v81, v132, 0x3eae86e6, v128
	v_add_f32_e32 v86, v71, v84
	s_delay_alu instid0(VALU_DEP_3)
	v_dual_fmamk_f32 v70, v113, 0x3d64c772, v103 :: v_dual_add_f32 v87, v72, v83
	v_fma_f32 v73, 0x3f3bfb3b, v102, -v120
	v_fma_f32 v74, 0xbf3bfb3b, v101, -v103
	;; [unrolled: 1-line block ×6, first 2 shown]
	v_dual_fmac_f32 v82, 0x3ee1c552, v105 :: v_dual_fmac_f32 v81, 0x3ee1c552, v112
	v_dual_add_f32 v85, v70, v83 :: v_dual_add_f32 v84, v73, v84
	v_dual_fmac_f32 v77, 0x3ee1c552, v105 :: v_dual_fmac_f32 v76, 0x3ee1c552, v112
	s_delay_alu instid0(VALU_DEP_4) | instskip(NEXT) | instid1(VALU_DEP_3)
	v_dual_fmac_f32 v80, 0x3ee1c552, v105 :: v_dual_fmac_f32 v79, 0x3ee1c552, v112
	v_dual_add_f32 v83, v74, v83 :: v_dual_add_f32 v70, v81, v85
	v_sub_f32_e32 v71, v86, v82
	s_delay_alu instid0(VALU_DEP_3) | instskip(NEXT) | instid1(VALU_DEP_3)
	v_dual_sub_f32 v73, v88, v80 :: v_dual_add_f32 v82, v82, v86
	v_add_f32_e32 v72, v79, v83
	v_sub_f32_e32 v74, v87, v76
	v_dual_add_f32 v75, v77, v84 :: v_dual_add_f32 v76, v76, v87
	v_sub_f32_e32 v77, v84, v77
	v_dual_sub_f32 v79, v83, v79 :: v_dual_add_f32 v80, v80, v88
	v_sub_f32_e32 v81, v85, v81
	ds_store_2addr_b64 v111, v[95:96], v[97:98] offset0:148 offset1:203
	ds_store_2addr_b64 v126, v[68:69], v[70:71] offset0:2 offset1:57
	;; [unrolled: 1-line block ×4, first 2 shown]
	ds_store_b64 v178, v[81:82] offset:8800
	v_add_co_u32 v68, s1, s2, v106
	s_wait_alu 0xf1ff
	v_add_co_ci_u32_e64 v69, s1, s3, v107, s1
	v_add_co_u32 v70, s1, s2, v122
	s_wait_alu 0xf1ff
	v_add_co_ci_u32_e64 v71, s1, s3, v123, s1
	global_wb scope:SCOPE_SE
	s_wait_dscnt 0x0
	s_barrier_signal -1
	s_barrier_wait -1
	global_inv scope:SCOPE_SE
	s_clause 0x1
	global_load_b128 v[84:87], v[68:69], off offset:2992
	global_load_b128 v[72:75], v[70:71], off offset:2992
	v_add_co_u32 v68, s1, s2, v124
	s_wait_alu 0xf1ff
	v_add_co_ci_u32_e64 v69, s1, s3, v125, s1
	s_clause 0x1
	global_load_b128 v[92:95], v78, s[2:3] offset:2992
	global_load_b128 v[88:91], v109, s[2:3] offset:2992
	v_add_nc_u32_e32 v70, 0x1130, v78
	global_load_b128 v[80:83], v[68:69], off offset:2992
	v_add_nc_u32_e32 v68, 0x14a0, v78
	s_clause 0x1
	global_load_b128 v[76:79], v70, s[2:3] offset:2992
	global_load_b128 v[68:71], v68, s[2:3] offset:2992
	ds_load_2addr_b64 v[96:99], v117 offset0:74 offset1:129
	ds_load_2addr_b64 v[112:115], v110 offset0:2 offset1:57
	;; [unrolled: 1-line block ×5, first 2 shown]
	ds_load_2addr_b64 v[133:136], v173 offset1:55
	ds_load_2addr_b64 v[100:103], v173 offset0:110 offset1:165
	ds_load_2addr_b64 v[104:107], v116 offset0:92 offset1:147
	;; [unrolled: 1-line block ×4, first 2 shown]
	ds_load_b64 v[108:109], v173 offset:8800
	v_add_nc_u32_e32 v124, 0xc00, v173
	v_add_nc_u32_e32 v143, 0x2000, v173
	s_add_nc_u64 s[2:3], s[12:13], 0x2418
	s_wait_loadcnt_dscnt 0x507
	v_dual_mul_f32 v191, v121, v85 :: v_dual_mul_f32 v198, v127, v75
	v_mul_f32_e32 v192, v120, v85
	s_wait_dscnt 0x6
	v_dual_mul_f32 v194, v125, v87 :: v_dual_mul_f32 v195, v130, v73
	s_wait_loadcnt 0x4
	v_dual_mul_f32 v193, v126, v87 :: v_dual_mul_f32 v122, v99, v93
	v_mul_f32_e32 v123, v98, v93
	v_mul_f32_e32 v141, v113, v95
	s_wait_loadcnt 0x3
	v_dual_mul_f32 v142, v112, v95 :: v_dual_mul_f32 v187, v119, v89
	v_mul_f32_e32 v190, v114, v91
	v_dual_mul_f32 v188, v118, v89 :: v_dual_mul_f32 v189, v115, v91
	s_wait_loadcnt_dscnt 0x202
	v_dual_mul_f32 v199, v132, v81 :: v_dual_mul_f32 v202, v137, v83
	v_dual_mul_f32 v201, v138, v83 :: v_dual_mul_f32 v196, v129, v73
	;; [unrolled: 1-line block ×3, first 2 shown]
	s_wait_loadcnt 0x1
	v_mul_f32_e32 v205, v140, v79
	s_wait_dscnt 0x1
	v_dual_mul_f32 v203, v184, v77 :: v_dual_mul_f32 v206, v139, v79
	s_wait_loadcnt_dscnt 0x0
	v_dual_mul_f32 v204, v183, v77 :: v_dual_mul_f32 v209, v109, v71
	v_dual_mul_f32 v207, v186, v69 :: v_dual_mul_f32 v210, v108, v71
	v_dual_mul_f32 v208, v185, v69 :: v_dual_fmac_f32 v123, v99, v92
	v_fma_f32 v98, v98, v92, -v122
	v_fma_f32 v99, v112, v94, -v141
	v_fmac_f32_e32 v142, v113, v94
	v_fma_f32 v112, v118, v88, -v187
	v_fma_f32 v113, v114, v90, -v189
	;; [unrolled: 1-line block ×3, first 2 shown]
	v_fmac_f32_e32 v192, v121, v84
	v_fma_f32 v118, v129, v72, -v195
	v_fma_f32 v120, v131, v80, -v199
	;; [unrolled: 1-line block ×3, first 2 shown]
	v_fmac_f32_e32 v188, v119, v88
	v_dual_fmac_f32 v194, v126, v86 :: v_dual_sub_f32 v141, v112, v113
	s_delay_alu instid0(VALU_DEP_3)
	v_dual_fmac_f32 v196, v130, v72 :: v_dual_add_f32 v195, v120, v121
	v_fma_f32 v119, v127, v74, -v197
	v_dual_fmac_f32 v200, v132, v80 :: v_dual_add_f32 v187, v102, v118
	v_fmac_f32_e32 v202, v138, v82
	v_fma_f32 v122, v183, v76, -v203
	v_fmac_f32_e32 v204, v184, v76
	v_fma_f32 v137, v139, v78, -v205
	v_dual_fmac_f32 v206, v140, v78 :: v_dual_add_f32 v191, v103, v196
	v_fmac_f32_e32 v210, v109, v70
	v_add_f32_e32 v109, v133, v98
	s_delay_alu instid0(VALU_DEP_4)
	v_dual_add_f32 v201, v122, v137 :: v_dual_fmac_f32 v190, v115, v90
	v_add_f32_e32 v131, v136, v188
	v_fma_f32 v115, v125, v86, -v193
	v_fmac_f32_e32 v198, v128, v74
	v_dual_add_f32 v126, v98, v99 :: v_dual_add_f32 v197, v105, v200
	v_add_f32_e32 v128, v134, v123
	v_dual_sub_f32 v139, v98, v99 :: v_dual_sub_f32 v138, v123, v142
	v_add_f32_e32 v123, v123, v142
	v_fma_f32 v125, v185, v68, -v207
	v_sub_f32_e32 v207, v122, v137
	v_add_f32_e32 v185, v101, v192
	v_dual_sub_f32 v193, v118, v119 :: v_dual_add_f32 v98, v135, v112
	v_sub_f32_e32 v203, v204, v206
	v_dual_add_f32 v130, v112, v113 :: v_dual_add_f32 v205, v107, v204
	v_add_f32_e32 v199, v200, v202
	v_fma_f32 v127, -0.5, v126, v133
	v_add_f32_e32 v126, v128, v142
	v_fma_f32 v128, -0.5, v123, v134
	v_add_f32_e32 v204, v204, v206
	v_fma_f32 v108, v108, v70, -v209
	v_dual_sub_f32 v140, v188, v190 :: v_dual_add_f32 v183, v114, v115
	v_dual_fmac_f32 v208, v186, v68 :: v_dual_sub_f32 v189, v196, v198
	v_add_f32_e32 v132, v188, v190
	v_dual_sub_f32 v184, v192, v194 :: v_dual_add_f32 v129, v98, v113
	v_dual_add_f32 v186, v192, v194 :: v_dual_add_f32 v133, v187, v119
	v_fma_f32 v123, -0.5, v199, v105
	v_dual_fmamk_f32 v105, v139, 0xbf5db3d7, v128 :: v_dual_add_f32 v192, v196, v198
	v_dual_fmac_f32 v107, -0.5, v204 :: v_dual_add_f32 v188, v118, v119
	v_add_f32_e32 v211, v125, v108
	v_add_f32_e32 v213, v97, v208
	s_delay_alu instid0(VALU_DEP_4)
	v_fmac_f32_e32 v103, -0.5, v192
	v_fma_f32 v135, -0.5, v130, v135
	v_sub_f32_e32 v212, v208, v210
	v_fmac_f32_e32 v136, -0.5, v132
	v_fma_f32 v102, -0.5, v188, v102
	v_add_f32_e32 v208, v208, v210
	v_add_f32_e32 v112, v100, v114
	v_dual_sub_f32 v114, v114, v115 :: v_dual_add_f32 v209, v96, v125
	v_dual_add_f32 v118, v104, v120 :: v_dual_add_f32 v119, v197, v202
	v_sub_f32_e32 v196, v200, v202
	v_dual_sub_f32 v200, v120, v121 :: v_dual_add_f32 v113, v205, v206
	v_sub_f32_e32 v214, v125, v108
	v_dual_add_f32 v125, v109, v99 :: v_dual_add_f32 v120, v106, v122
	v_fma_f32 v100, -0.5, v183, v100
	v_fma_f32 v101, -0.5, v186, v101
	v_add_f32_e32 v130, v131, v190
	v_fma_f32 v122, -0.5, v195, v104
	v_fma_f32 v106, -0.5, v201, v106
	;; [unrolled: 1-line block ×3, first 2 shown]
	v_dual_add_f32 v99, v213, v210 :: v_dual_fmamk_f32 v104, v138, 0x3f5db3d7, v127
	v_dual_fmac_f32 v127, 0xbf5db3d7, v138 :: v_dual_fmamk_f32 v138, v141, 0xbf5db3d7, v136
	v_fmac_f32_e32 v136, 0x3f5db3d7, v141
	v_fmamk_f32 v141, v189, 0x3f5db3d7, v102
	v_fmac_f32_e32 v97, -0.5, v208
	v_dual_add_f32 v131, v112, v115 :: v_dual_add_f32 v132, v185, v194
	v_add_f32_e32 v134, v191, v198
	v_add_f32_e32 v112, v120, v137
	v_dual_fmamk_f32 v137, v140, 0x3f5db3d7, v135 :: v_dual_fmac_f32 v128, 0x3f5db3d7, v139
	v_dual_fmac_f32 v135, 0xbf5db3d7, v140 :: v_dual_add_f32 v118, v118, v121
	v_fmamk_f32 v139, v184, 0x3f5db3d7, v100
	v_fmac_f32_e32 v100, 0xbf5db3d7, v184
	v_fmamk_f32 v140, v114, 0xbf5db3d7, v101
	v_fmac_f32_e32 v101, 0x3f5db3d7, v114
	v_fmamk_f32 v142, v193, 0xbf5db3d7, v103
	v_dual_add_f32 v98, v209, v108 :: v_dual_fmamk_f32 v115, v207, 0xbf5db3d7, v107
	v_fmac_f32_e32 v102, 0xbf5db3d7, v189
	v_dual_fmac_f32 v103, 0x3f5db3d7, v193 :: v_dual_fmamk_f32 v120, v196, 0x3f5db3d7, v122
	v_dual_fmac_f32 v122, 0xbf5db3d7, v196 :: v_dual_fmamk_f32 v121, v200, 0xbf5db3d7, v123
	;; [unrolled: 1-line block ×3, first 2 shown]
	v_fmac_f32_e32 v106, 0xbf5db3d7, v203
	v_dual_fmac_f32 v107, 0x3f5db3d7, v207 :: v_dual_fmamk_f32 v108, v212, 0x3f5db3d7, v96
	v_dual_fmac_f32 v96, 0xbf5db3d7, v212 :: v_dual_fmamk_f32 v109, v214, 0xbf5db3d7, v97
	v_fmac_f32_e32 v97, 0x3f5db3d7, v214
	ds_store_2addr_b64 v173, v[125:126], v[129:130] offset1:55
	ds_store_2addr_b64 v173, v[131:132], v[133:134] offset0:110 offset1:165
	ds_store_2addr_b64 v117, v[104:105], v[137:138] offset0:129 offset1:184
	ds_store_2addr_b64 v110, v[127:128], v[135:136] offset0:2 offset1:57
	ds_store_2addr_b64 v124, v[139:140], v[141:142] offset0:111 offset1:166
	ds_store_2addr_b64 v110, v[100:101], v[102:103] offset0:112 offset1:167
	ds_store_b64 v173, v[122:123] offset:7920
	ds_store_2addr_b64 v116, v[118:119], v[112:113] offset0:92 offset1:147
	ds_store_2addr_b64 v111, v[120:121], v[114:115] offset0:93 offset1:148
	ds_store_b64 v173, v[98:99] offset:2640
	ds_store_b64 v173, v[108:109] offset:5720
	ds_store_2addr_b64 v143, v[106:107], v[96:97] offset0:21 offset1:76
	global_wb scope:SCOPE_SE
	s_wait_dscnt 0x0
	s_barrier_signal -1
	s_barrier_wait -1
	global_inv scope:SCOPE_SE
	s_clause 0xa
	global_load_b64 v[100:101], v[144:145], off offset:9240
	global_load_b64 v[104:105], v173, s[2:3] offset:840
	global_load_b64 v[141:142], v173, s[2:3] offset:1680
	;; [unrolled: 1-line block ×10, first 2 shown]
	ds_load_2addr_b64 v[125:128], v173 offset1:105
	s_wait_loadcnt_dscnt 0xa00
	v_mul_f32_e32 v129, v126, v101
	v_mul_f32_e32 v130, v125, v101
	s_wait_loadcnt 0x9
	v_mul_f32_e32 v131, v128, v105
	v_mul_f32_e32 v101, v127, v105
	v_fma_f32 v129, v125, v100, -v129
	v_fmac_f32_e32 v130, v126, v100
	s_delay_alu instid0(VALU_DEP_4) | instskip(NEXT) | instid1(VALU_DEP_4)
	v_fma_f32 v100, v127, v104, -v131
	v_fmac_f32_e32 v101, v128, v104
	ds_store_2addr_b64 v173, v[129:130], v[100:101] offset1:105
	ds_load_2addr_b64 v[125:128], v116 offset0:82 offset1:187
	ds_load_2addr_b64 v[129:132], v124 offset0:36 offset1:141
	;; [unrolled: 1-line block ×4, first 2 shown]
	ds_load_b64 v[100:101], v173 offset:8400
	s_wait_loadcnt_dscnt 0x804
	v_mul_f32_e32 v104, v126, v142
	v_mul_f32_e32 v105, v125, v142
	s_wait_loadcnt 0x7
	v_mul_f32_e32 v143, v128, v184
	s_wait_loadcnt_dscnt 0x603
	v_dual_mul_f32 v142, v127, v184 :: v_dual_mul_f32 v199, v130, v186
	v_dual_mul_f32 v184, v129, v186 :: v_dual_fmac_f32 v105, v126, v141
	s_wait_loadcnt 0x5
	v_mul_f32_e32 v200, v132, v188
	s_wait_loadcnt_dscnt 0x402
	v_dual_mul_f32 v186, v131, v188 :: v_dual_mul_f32 v201, v134, v190
	v_mul_f32_e32 v188, v133, v190
	s_wait_loadcnt 0x3
	v_mul_f32_e32 v202, v136, v192
	s_wait_loadcnt_dscnt 0x201
	v_dual_mul_f32 v190, v135, v192 :: v_dual_mul_f32 v203, v138, v194
	v_mul_f32_e32 v192, v137, v194
	;; [unrolled: 5-line block ×3, first 2 shown]
	v_fma_f32 v104, v125, v141, -v104
	v_fma_f32 v141, v127, v183, -v143
	v_fmac_f32_e32 v142, v128, v183
	v_fma_f32 v183, v129, v185, -v199
	v_fmac_f32_e32 v184, v130, v185
	;; [unrolled: 2-line block ×8, first 2 shown]
	ds_store_2addr_b64 v116, v[104:105], v[141:142] offset0:82 offset1:187
	ds_store_2addr_b64 v124, v[183:184], v[185:186] offset0:36 offset1:141
	;; [unrolled: 1-line block ×4, first 2 shown]
	ds_store_b64 v173, v[195:196] offset:8400
	s_and_saveexec_b32 s1, vcc_lo
	s_cbranch_execz .LBB0_13
; %bb.12:
	s_wait_alu 0xfffe
	v_add_co_u32 v100, s2, s2, v173
	s_wait_alu 0xf1ff
	v_add_co_ci_u32_e64 v101, null, s3, 0, s2
	s_clause 0xa
	global_load_b64 v[104:105], v[100:101], off offset:440
	global_load_b64 v[129:130], v[100:101], off offset:1280
	;; [unrolled: 1-line block ×11, first 2 shown]
	ds_load_2addr_b64 v[125:128], v173 offset0:55 offset1:160
	v_add_nc_u32_e32 v200, 0x1400, v173
	s_wait_loadcnt_dscnt 0x900
	v_dual_mul_f32 v132, v126, v105 :: v_dual_mul_f32 v133, v128, v130
	v_mul_f32_e32 v131, v125, v105
	v_mul_f32_e32 v105, v127, v130
	s_delay_alu instid0(VALU_DEP_3) | instskip(NEXT) | instid1(VALU_DEP_3)
	v_fma_f32 v130, v125, v104, -v132
	v_fmac_f32_e32 v131, v126, v104
	v_fma_f32 v104, v127, v129, -v133
	s_delay_alu instid0(VALU_DEP_4)
	v_fmac_f32_e32 v105, v128, v129
	ds_store_2addr_b64 v173, v[130:131], v[104:105] offset0:55 offset1:160
	ds_load_2addr_b64 v[125:128], v117 offset0:9 offset1:114
	ds_load_2addr_b64 v[129:132], v124 offset0:91 offset1:196
	;; [unrolled: 1-line block ×4, first 2 shown]
	ds_load_b64 v[104:105], v173 offset:8840
	s_wait_loadcnt_dscnt 0x503
	v_dual_mul_f32 v202, v130, v186 :: v_dual_mul_f32 v203, v132, v188
	s_wait_loadcnt_dscnt 0x201
	v_mul_f32_e32 v206, v138, v194
	v_mul_f32_e32 v198, v126, v142
	;; [unrolled: 1-line block ×3, first 2 shown]
	v_dual_mul_f32 v201, v128, v184 :: v_dual_mul_f32 v204, v134, v190
	v_dual_mul_f32 v197, v127, v184 :: v_dual_mul_f32 v184, v129, v186
	v_mul_f32_e32 v186, v131, v188
	v_dual_mul_f32 v188, v133, v190 :: v_dual_mul_f32 v205, v136, v192
	s_wait_loadcnt_dscnt 0x0
	v_dual_mul_f32 v190, v135, v192 :: v_dual_mul_f32 v199, v104, v101
	v_dual_mul_f32 v192, v137, v194 :: v_dual_mul_f32 v207, v140, v196
	v_mul_f32_e32 v208, v105, v101
	v_dual_mul_f32 v194, v139, v196 :: v_dual_fmac_f32 v143, v126, v141
	v_fma_f32 v142, v125, v141, -v198
	v_fma_f32 v196, v127, v183, -v201
	v_dual_fmac_f32 v197, v128, v183 :: v_dual_fmac_f32 v184, v130, v185
	v_fma_f32 v183, v129, v185, -v202
	v_fma_f32 v185, v131, v187, -v203
	v_dual_fmac_f32 v186, v132, v187 :: v_dual_fmac_f32 v199, v105, v100
	v_fma_f32 v187, v133, v189, -v204
	v_fmac_f32_e32 v188, v134, v189
	v_fma_f32 v189, v135, v191, -v205
	v_fmac_f32_e32 v190, v136, v191
	;; [unrolled: 2-line block ×4, first 2 shown]
	v_fma_f32 v198, v104, v100, -v208
	ds_store_2addr_b64 v117, v[142:143], v[196:197] offset0:9 offset1:114
	ds_store_2addr_b64 v124, v[183:184], v[185:186] offset0:91 offset1:196
	;; [unrolled: 1-line block ×4, first 2 shown]
	ds_store_b64 v173, v[198:199] offset:8840
.LBB0_13:
	s_wait_alu 0xfffe
	s_or_b32 exec_lo, exec_lo, s1
	global_wb scope:SCOPE_SE
	s_wait_dscnt 0x0
	s_barrier_signal -1
	s_barrier_wait -1
	global_inv scope:SCOPE_SE
	ds_load_2addr_b64 v[140:143], v173 offset1:105
	ds_load_2addr_b64 v[132:135], v116 offset0:82 offset1:187
	ds_load_2addr_b64 v[124:127], v124 offset0:36 offset1:141
	;; [unrolled: 1-line block ×4, first 2 shown]
	ds_load_b64 v[100:101], v173 offset:8400
	s_and_saveexec_b32 s1, vcc_lo
	s_cbranch_execz .LBB0_15
; %bb.14:
	v_add_nc_u32_e32 v96, 0x1400, v173
	v_add_nc_u32_e32 v102, 0x1800, v173
	ds_load_2addr_b64 v[116:119], v173 offset0:55 offset1:160
	ds_load_2addr_b64 v[96:99], v96 offset0:45 offset1:150
	;; [unrolled: 1-line block ×3, first 2 shown]
	v_add_nc_u32_e32 v102, 0x800, v173
	v_add_nc_u32_e32 v103, 0xc00, v173
	ds_load_b64 v[171:172], v173 offset:8840
	ds_load_2addr_b64 v[120:123], v102 offset0:9 offset1:114
	ds_load_2addr_b64 v[112:115], v103 offset0:91 offset1:196
	s_wait_dscnt 0x5
	v_mov_b32_e32 v102, v116
	s_wait_dscnt 0x4
	v_dual_mov_b32 v106, v96 :: v_dual_mov_b32 v107, v97
	s_wait_dscnt 0x3
	v_dual_mov_b32 v96, v110 :: v_dual_mov_b32 v97, v111
	v_mov_b32_e32 v103, v117
.LBB0_15:
	s_wait_alu 0xfffe
	s_or_b32 exec_lo, exec_lo, s1
	s_wait_dscnt 0x5
	v_dual_add_f32 v104, v140, v142 :: v_dual_add_f32 v105, v141, v143
	s_wait_dscnt 0x0
	v_dual_add_f32 v110, v100, v142 :: v_dual_sub_f32 v111, v143, v101
	v_dual_add_f32 v116, v101, v143 :: v_dual_sub_f32 v117, v142, v100
	s_delay_alu instid0(VALU_DEP_3)
	v_dual_add_f32 v104, v104, v132 :: v_dual_add_f32 v105, v105, v133
	global_wb scope:SCOPE_SE
	s_barrier_signal -1
	s_barrier_wait -1
	v_dual_add_f32 v104, v104, v134 :: v_dual_add_f32 v105, v105, v135
	v_mul_f32_e32 v142, 0xbf0a6770, v111
	v_mul_f32_e32 v183, 0xbf68dda4, v111
	global_inv scope:SCOPE_SE
	v_dual_add_f32 v104, v104, v124 :: v_dual_add_f32 v105, v105, v125
	v_mul_f32_e32 v143, 0x3f575c64, v116
	v_mul_f32_e32 v184, 0x3ed4b147, v116
	v_mul_f32_e32 v192, 0xbf27a4f4, v116
	s_delay_alu instid0(VALU_DEP_4) | instskip(SKIP_3) | instid1(VALU_DEP_4)
	v_dual_add_f32 v104, v104, v126 :: v_dual_add_f32 v105, v105, v127
	v_mul_f32_e32 v185, 0xbf7d64f0, v111
	v_mul_f32_e32 v186, 0xbe11bafb, v116
	;; [unrolled: 1-line block ×3, first 2 shown]
	v_dual_add_f32 v104, v104, v128 :: v_dual_add_f32 v105, v105, v129
	v_fmamk_f32 v187, v110, 0x3f575c64, v142
	v_fma_f32 v142, 0x3f575c64, v110, -v142
	s_delay_alu instid0(VALU_DEP_3) | instskip(NEXT) | instid1(VALU_DEP_3)
	v_dual_fmamk_f32 v191, v110, 0xbe11bafb, v185 :: v_dual_add_f32 v104, v104, v130
	v_dual_fmamk_f32 v188, v117, 0x3f0a6770, v143 :: v_dual_add_f32 v187, v140, v187
	v_add_f32_e32 v105, v105, v131
	s_delay_alu instid0(VALU_DEP_3) | instskip(NEXT) | instid1(VALU_DEP_3)
	v_dual_fmac_f32 v143, 0xbf0a6770, v117 :: v_dual_add_f32 v104, v104, v136
	v_dual_fmamk_f32 v189, v110, 0x3ed4b147, v183 :: v_dual_add_f32 v188, v141, v188
	v_fmamk_f32 v190, v117, 0x3f68dda4, v184
	v_fmac_f32_e32 v184, 0xbf68dda4, v117
	s_delay_alu instid0(VALU_DEP_4) | instskip(SKIP_2) | instid1(VALU_DEP_3)
	v_dual_add_f32 v105, v105, v137 :: v_dual_add_f32 v104, v104, v138
	v_fma_f32 v185, 0xbe11bafb, v110, -v185
	v_dual_add_f32 v142, v140, v142 :: v_dual_add_f32 v143, v141, v143
	v_dual_add_f32 v105, v105, v139 :: v_dual_add_f32 v104, v104, v100
	v_add_f32_e32 v100, v141, v184
	s_delay_alu instid0(VALU_DEP_4) | instskip(NEXT) | instid1(VALU_DEP_3)
	v_dual_fmamk_f32 v184, v117, 0x3f7d64f0, v186 :: v_dual_add_f32 v185, v140, v185
	v_add_f32_e32 v105, v105, v101
	v_add_f32_e32 v101, v140, v191
	s_delay_alu instid0(VALU_DEP_3) | instskip(SKIP_2) | instid1(VALU_DEP_3)
	v_dual_mul_f32 v191, 0xbf4178ce, v111 :: v_dual_add_f32 v184, v141, v184
	v_dual_fmamk_f32 v197, v117, 0x3e903f40, v116 :: v_dual_add_f32 v198, v138, v132
	v_fma_f32 v183, 0x3ed4b147, v110, -v183
	v_fmamk_f32 v193, v110, 0xbf27a4f4, v191
	v_fma_f32 v191, 0xbf27a4f4, v110, -v191
	v_fmac_f32_e32 v186, 0xbf7d64f0, v117
	v_sub_f32_e32 v196, v133, v139
	v_fmac_f32_e32 v116, 0xbe903f40, v117
	v_add_f32_e32 v189, v140, v189
	s_delay_alu instid0(VALU_DEP_4) | instskip(SKIP_3) | instid1(VALU_DEP_3)
	v_dual_add_f32 v191, v140, v191 :: v_dual_add_f32 v186, v141, v186
	v_dual_fmamk_f32 v194, v117, 0x3f4178ce, v192 :: v_dual_add_f32 v193, v140, v193
	v_mul_f32_e32 v111, 0xbe903f40, v111
	v_mul_f32_e32 v199, 0xbf68dda4, v196
	v_dual_add_f32 v133, v139, v133 :: v_dual_add_f32 v194, v141, v194
	v_dual_add_f32 v190, v141, v190 :: v_dual_add_f32 v183, v140, v183
	s_delay_alu instid0(VALU_DEP_4) | instskip(SKIP_3) | instid1(VALU_DEP_3)
	v_fmamk_f32 v195, v110, 0xbf75a155, v111
	v_fmac_f32_e32 v192, 0xbf4178ce, v117
	v_fma_f32 v110, 0xbf75a155, v110, -v111
	v_dual_sub_f32 v111, v132, v138 :: v_dual_mul_f32 v132, 0x3ed4b147, v133
	v_dual_add_f32 v195, v140, v195 :: v_dual_add_f32 v192, v141, v192
	v_dual_add_f32 v138, v141, v197 :: v_dual_fmamk_f32 v117, v198, 0x3ed4b147, v199
	s_delay_alu instid0(VALU_DEP_4) | instskip(NEXT) | instid1(VALU_DEP_4)
	v_add_f32_e32 v110, v140, v110
	v_dual_add_f32 v116, v141, v116 :: v_dual_fmamk_f32 v139, v111, 0x3f68dda4, v132
	v_fma_f32 v141, 0x3ed4b147, v198, -v199
	v_mul_f32_e32 v140, 0xbf4178ce, v196
	v_fmac_f32_e32 v132, 0xbf68dda4, v111
	v_add_f32_e32 v117, v117, v187
	v_add_f32_e32 v139, v139, v188
	;; [unrolled: 1-line block ×3, first 2 shown]
	v_dual_mul_f32 v187, 0xbf27a4f4, v133 :: v_dual_fmamk_f32 v188, v198, 0xbf27a4f4, v140
	v_dual_add_f32 v132, v132, v143 :: v_dual_mul_f32 v143, 0x3e903f40, v196
	v_fma_f32 v140, 0xbf27a4f4, v198, -v140
	s_delay_alu instid0(VALU_DEP_3) | instskip(NEXT) | instid1(VALU_DEP_3)
	v_dual_add_f32 v199, v107, v115 :: v_dual_add_f32 v188, v188, v189
	v_dual_add_f32 v200, v99, v113 :: v_dual_fmamk_f32 v189, v198, 0xbf75a155, v143
	v_fmamk_f32 v142, v111, 0x3f4178ce, v187
	v_fmac_f32_e32 v187, 0xbf4178ce, v111
	v_fma_f32 v143, 0xbf75a155, v198, -v143
	s_delay_alu instid0(VALU_DEP_3) | instskip(SKIP_4) | instid1(VALU_DEP_4)
	v_dual_add_f32 v101, v189, v101 :: v_dual_add_f32 v142, v142, v190
	v_mul_f32_e32 v190, 0xbf75a155, v133
	v_dual_add_f32 v140, v140, v183 :: v_dual_mul_f32 v183, 0x3f7d64f0, v196
	v_add_f32_e32 v100, v187, v100
	v_add_f32_e32 v143, v143, v185
	v_fmamk_f32 v187, v111, 0xbe903f40, v190
	v_fmac_f32_e32 v190, 0x3e903f40, v111
	v_fmamk_f32 v189, v198, 0xbe11bafb, v183
	v_mul_f32_e32 v197, 0xbe11bafb, v133
	v_fma_f32 v183, 0xbe11bafb, v198, -v183
	s_delay_alu instid0(VALU_DEP_4) | instskip(NEXT) | instid1(VALU_DEP_4)
	v_dual_add_f32 v184, v187, v184 :: v_dual_add_f32 v185, v190, v186
	v_dual_add_f32 v186, v189, v193 :: v_dual_mul_f32 v189, 0x3f0a6770, v196
	v_dual_mul_f32 v133, 0x3f575c64, v133 :: v_dual_add_f32 v196, v109, v123
	s_delay_alu instid0(VALU_DEP_2) | instskip(SKIP_1) | instid1(VALU_DEP_3)
	v_fmamk_f32 v190, v198, 0x3f575c64, v189
	v_fmamk_f32 v187, v111, 0xbf7d64f0, v197
	;; [unrolled: 1-line block ×3, first 2 shown]
	v_fmac_f32_e32 v197, 0x3f7d64f0, v111
	v_fmac_f32_e32 v133, 0x3f0a6770, v111
	v_sub_f32_e32 v111, v134, v136
	v_add_f32_e32 v190, v190, v195
	v_add_f32_e32 v138, v193, v138
	s_delay_alu instid0(VALU_DEP_4)
	v_dual_add_f32 v193, v136, v134 :: v_dual_add_f32 v116, v133, v116
	v_add_f32_e32 v183, v183, v191
	v_dual_add_f32 v191, v197, v192 :: v_dual_sub_f32 v192, v135, v137
	v_add_f32_e32 v135, v137, v135
	v_fma_f32 v189, 0x3f575c64, v198, -v189
	v_mul_f32_e32 v195, 0xbe11bafb, v200
	v_sub_f32_e32 v197, v115, v107
	v_mul_f32_e32 v137, 0xbf7d64f0, v192
	v_mul_f32_e32 v198, 0x3f575c64, v199
	v_add_f32_e32 v110, v189, v110
	s_delay_alu instid0(VALU_DEP_3) | instskip(SKIP_1) | instid1(VALU_DEP_2)
	v_fmamk_f32 v136, v193, 0xbe11bafb, v137
	v_mul_f32_e32 v133, 0x3e903f40, v192
	v_add_f32_e32 v117, v136, v117
	v_fma_f32 v136, 0xbe11bafb, v193, -v137
	s_delay_alu instid0(VALU_DEP_1) | instskip(SKIP_1) | instid1(VALU_DEP_1)
	v_dual_fmamk_f32 v137, v193, 0xbf75a155, v133 :: v_dual_add_f32 v136, v136, v141
	v_dual_add_f32 v187, v187, v194 :: v_dual_mul_f32 v134, 0xbe11bafb, v135
	v_fmamk_f32 v189, v111, 0x3f7d64f0, v134
	v_fmac_f32_e32 v134, 0xbf7d64f0, v111
	s_delay_alu instid0(VALU_DEP_1)
	v_add_f32_e32 v132, v134, v132
	v_add_f32_e32 v134, v137, v188
	v_mul_f32_e32 v188, 0x3ed4b147, v135
	v_add_f32_e32 v139, v189, v139
	v_mul_f32_e32 v189, 0xbf75a155, v135
	v_mul_f32_e32 v137, 0x3f68dda4, v192
	s_delay_alu instid0(VALU_DEP_2) | instskip(SKIP_1) | instid1(VALU_DEP_1)
	v_fmamk_f32 v141, v111, 0xbe903f40, v189
	v_fmac_f32_e32 v189, 0x3e903f40, v111
	v_add_f32_e32 v100, v189, v100
	s_delay_alu instid0(VALU_DEP_3) | instskip(NEXT) | instid1(VALU_DEP_1)
	v_dual_add_f32 v141, v141, v142 :: v_dual_mul_f32 v142, 0xbf0a6770, v192
	v_fmamk_f32 v189, v193, 0x3f575c64, v142
	v_fma_f32 v142, 0x3f575c64, v193, -v142
	s_delay_alu instid0(VALU_DEP_2) | instskip(NEXT) | instid1(VALU_DEP_2)
	v_add_f32_e32 v186, v189, v186
	v_add_f32_e32 v142, v142, v183
	v_fma_f32 v133, 0xbf75a155, v193, -v133
	s_delay_alu instid0(VALU_DEP_1) | instskip(SKIP_3) | instid1(VALU_DEP_4)
	v_dual_add_f32 v133, v133, v140 :: v_dual_fmamk_f32 v140, v111, 0xbf68dda4, v188
	v_fmac_f32_e32 v188, 0x3f68dda4, v111
	v_fmamk_f32 v194, v193, 0x3ed4b147, v137
	v_fma_f32 v137, 0x3ed4b147, v193, -v137
	v_add_f32_e32 v140, v140, v184
	s_delay_alu instid0(VALU_DEP_3) | instskip(NEXT) | instid1(VALU_DEP_3)
	v_dual_mul_f32 v184, 0x3f575c64, v135 :: v_dual_add_f32 v101, v194, v101
	v_add_f32_e32 v137, v137, v143
	v_add_f32_e32 v143, v188, v185
	v_mul_f32_e32 v185, 0xbf4178ce, v192
	s_delay_alu instid0(VALU_DEP_4) | instskip(SKIP_3) | instid1(VALU_DEP_4)
	v_fmamk_f32 v188, v111, 0x3f0a6770, v184
	v_fmac_f32_e32 v184, 0xbf0a6770, v111
	v_add_f32_e32 v192, v97, v121
	v_sub_f32_e32 v194, v113, v99
	v_add_f32_e32 v187, v188, v187
	v_dual_sub_f32 v188, v125, v131 :: v_dual_add_f32 v125, v131, v125
	v_fmamk_f32 v189, v193, 0xbf27a4f4, v185
	v_add_f32_e32 v183, v184, v191
	s_delay_alu instid0(VALU_DEP_2) | instskip(NEXT) | instid1(VALU_DEP_4)
	v_dual_add_f32 v131, v130, v124 :: v_dual_add_f32 v184, v189, v190
	v_mul_f32_e32 v190, 0xbf4178ce, v188
	v_mul_f32_e32 v135, 0xbf27a4f4, v135
	v_fma_f32 v185, 0xbf27a4f4, v193, -v185
	v_mul_f32_e32 v193, 0xbf75a155, v196
	s_delay_alu instid0(VALU_DEP_3) | instskip(SKIP_3) | instid1(VALU_DEP_3)
	v_fmamk_f32 v189, v111, 0x3f4178ce, v135
	v_fmac_f32_e32 v135, 0xbf4178ce, v111
	v_dual_sub_f32 v111, v124, v130 :: v_dual_mul_f32 v124, 0xbf27a4f4, v125
	v_dual_add_f32 v110, v185, v110 :: v_dual_mul_f32 v185, 0x3f7d64f0, v188
	v_add_f32_e32 v116, v135, v116
	s_delay_alu instid0(VALU_DEP_3) | instskip(SKIP_1) | instid1(VALU_DEP_2)
	v_dual_add_f32 v130, v189, v138 :: v_dual_fmamk_f32 v135, v111, 0x3f4178ce, v124
	v_fmac_f32_e32 v124, 0xbf4178ce, v111
	v_add_f32_e32 v135, v135, v139
	s_delay_alu instid0(VALU_DEP_2) | instskip(SKIP_1) | instid1(VALU_DEP_2)
	v_dual_fmamk_f32 v139, v131, 0xbe11bafb, v185 :: v_dual_add_f32 v124, v124, v132
	v_mul_f32_e32 v132, 0xbf0a6770, v188
	v_dual_mul_f32 v189, 0xbe11bafb, v125 :: v_dual_add_f32 v134, v139, v134
	v_fmamk_f32 v138, v131, 0xbf27a4f4, v190
	v_fma_f32 v139, 0xbe11bafb, v131, -v185
	s_delay_alu instid0(VALU_DEP_4) | instskip(SKIP_1) | instid1(VALU_DEP_4)
	v_fmamk_f32 v185, v131, 0x3f575c64, v132
	v_fma_f32 v132, 0x3f575c64, v131, -v132
	v_add_f32_e32 v117, v138, v117
	v_fma_f32 v138, 0xbf27a4f4, v131, -v190
	v_mul_f32_e32 v190, 0x3f575c64, v125
	v_add_f32_e32 v133, v139, v133
	v_add_f32_e32 v132, v132, v137
	s_delay_alu instid0(VALU_DEP_4) | instskip(SKIP_3) | instid1(VALU_DEP_3)
	v_add_f32_e32 v136, v138, v136
	v_fmamk_f32 v138, v111, 0xbf7d64f0, v189
	v_fmamk_f32 v139, v111, 0x3f0a6770, v190
	v_fmac_f32_e32 v190, 0xbf0a6770, v111
	v_dual_add_f32 v138, v138, v141 :: v_dual_mul_f32 v141, 0xbe903f40, v188
	v_add_f32_e32 v101, v185, v101
	v_mul_f32_e32 v185, 0xbf75a155, v125
	v_add_f32_e32 v139, v139, v140
	v_dual_add_f32 v137, v190, v143 :: v_dual_mul_f32 v188, 0x3f68dda4, v188
	v_fmamk_f32 v140, v131, 0xbf75a155, v141
	s_delay_alu instid0(VALU_DEP_4) | instskip(SKIP_2) | instid1(VALU_DEP_4)
	v_fmamk_f32 v143, v111, 0x3e903f40, v185
	v_fma_f32 v141, 0xbf75a155, v131, -v141
	v_fmac_f32_e32 v185, 0xbe903f40, v111
	v_dual_mul_f32 v125, 0x3ed4b147, v125 :: v_dual_add_f32 v140, v140, v186
	s_delay_alu instid0(VALU_DEP_3) | instskip(NEXT) | instid1(VALU_DEP_3)
	v_dual_fmamk_f32 v186, v131, 0x3ed4b147, v188 :: v_dual_add_f32 v141, v141, v142
	v_add_f32_e32 v142, v185, v183
	v_fmac_f32_e32 v189, 0x3f7d64f0, v111
	v_fma_f32 v131, 0x3ed4b147, v131, -v188
	s_delay_alu instid0(VALU_DEP_4)
	v_add_f32_e32 v184, v186, v184
	v_add_f32_e32 v186, v128, v126
	v_sub_f32_e32 v190, v123, v109
	v_dual_add_f32 v100, v189, v100 :: v_dual_sub_f32 v183, v127, v129
	v_fmamk_f32 v185, v111, 0xbf68dda4, v125
	v_fmac_f32_e32 v125, 0x3f68dda4, v111
	v_sub_f32_e32 v111, v126, v128
	v_add_f32_e32 v127, v129, v127
	v_add_f32_e32 v131, v131, v110
	s_delay_alu instid0(VALU_DEP_4) | instskip(NEXT) | instid1(VALU_DEP_3)
	v_dual_add_f32 v189, v172, v119 :: v_dual_add_f32 v220, v125, v116
	v_mul_f32_e32 v126, 0xbf75a155, v127
	s_delay_alu instid0(VALU_DEP_1) | instskip(NEXT) | instid1(VALU_DEP_1)
	v_fmamk_f32 v110, v111, 0x3e903f40, v126
	v_add_f32_e32 v202, v110, v135
	v_mul_f32_e32 v110, 0x3f575c64, v127
	v_mul_f32_e32 v129, 0xbe903f40, v183
	v_mul_f32_e32 v116, 0x3f0a6770, v183
	v_fmac_f32_e32 v126, 0xbe903f40, v111
	v_mul_f32_e32 v135, 0xbe11bafb, v196
	s_delay_alu instid0(VALU_DEP_4) | instskip(NEXT) | instid1(VALU_DEP_4)
	v_fmamk_f32 v128, v186, 0xbf75a155, v129
	v_fmamk_f32 v125, v186, 0x3f575c64, v116
	s_delay_alu instid0(VALU_DEP_4)
	v_add_f32_e32 v204, v126, v124
	v_fmamk_f32 v124, v111, 0xbf0a6770, v110
	v_add_f32_e32 v143, v143, v187
	v_dual_add_f32 v201, v128, v117 :: v_dual_fmac_f32 v110, 0x3f0a6770, v111
	v_fma_f32 v117, 0xbf75a155, v186, -v129
	v_add_f32_e32 v205, v125, v134
	v_fma_f32 v116, 0x3f575c64, v186, -v116
	v_add_f32_e32 v206, v124, v138
	s_delay_alu instid0(VALU_DEP_4) | instskip(SKIP_1) | instid1(VALU_DEP_4)
	v_dual_mul_f32 v124, 0xbf27a4f4, v127 :: v_dual_add_f32 v203, v117, v136
	v_mul_f32_e32 v117, 0xbf4178ce, v183
	v_dual_add_f32 v207, v116, v133 :: v_dual_add_f32 v208, v110, v100
	v_mul_f32_e32 v110, 0x3ed4b147, v127
	s_delay_alu instid0(VALU_DEP_3) | instskip(SKIP_2) | instid1(VALU_DEP_3)
	v_dual_add_f32 v130, v185, v130 :: v_dual_fmamk_f32 v125, v186, 0xbf27a4f4, v117
	v_dual_mul_f32 v100, 0x3f68dda4, v183 :: v_dual_sub_f32 v187, v121, v97
	v_dual_mul_f32 v136, 0x3ed4b147, v192 :: v_dual_mul_f32 v185, 0x3ed4b147, v189
	v_add_f32_e32 v209, v125, v101
	v_fmamk_f32 v101, v111, 0x3f4178ce, v124
	v_fmac_f32_e32 v124, 0xbf4178ce, v111
	s_delay_alu instid0(VALU_DEP_2) | instskip(SKIP_1) | instid1(VALU_DEP_3)
	v_dual_add_f32 v210, v101, v139 :: v_dual_fmamk_f32 v101, v111, 0xbf68dda4, v110
	v_fmac_f32_e32 v110, 0x3f68dda4, v111
	v_add_f32_e32 v212, v124, v137
	s_delay_alu instid0(VALU_DEP_3) | instskip(NEXT) | instid1(VALU_DEP_3)
	v_add_f32_e32 v214, v101, v143
	v_dual_mul_f32 v101, 0xbf7d64f0, v183 :: v_dual_add_f32 v216, v110, v142
	v_fma_f32 v116, 0xbf27a4f4, v186, -v117
	v_dual_fmamk_f32 v117, v186, 0x3ed4b147, v100 :: v_dual_add_f32 v110, v171, v118
	v_fma_f32 v100, 0x3ed4b147, v186, -v100
	v_mul_f32_e32 v143, 0xbe11bafb, v127
	s_delay_alu instid0(VALU_DEP_4) | instskip(NEXT) | instid1(VALU_DEP_4)
	v_add_f32_e32 v211, v116, v132
	v_add_f32_e32 v213, v117, v140
	s_delay_alu instid0(VALU_DEP_4) | instskip(SKIP_2) | instid1(VALU_DEP_3)
	v_dual_sub_f32 v140, v119, v172 :: v_dual_add_f32 v215, v100, v141
	v_dual_fmamk_f32 v100, v186, 0xbe11bafb, v101 :: v_dual_sub_f32 v117, v120, v96
	v_mul_f32_e32 v132, 0xbf7d64f0, v190
	v_mul_f32_e32 v128, 0xbf0a6770, v140
	;; [unrolled: 1-line block ×3, first 2 shown]
	s_delay_alu instid0(VALU_DEP_4) | instskip(SKIP_4) | instid1(VALU_DEP_4)
	v_add_f32_e32 v217, v100, v184
	v_fma_f32 v100, 0xbe11bafb, v186, -v101
	v_mul_f32_e32 v183, 0xbf4178ce, v187
	v_fma_f32 v101, 0x3f575c64, v110, -v128
	v_fma_f32 v124, 0x3ed4b147, v110, -v138
	v_dual_mul_f32 v186, 0x3e903f40, v190 :: v_dual_add_f32 v219, v100, v131
	s_delay_alu instid0(VALU_DEP_3) | instskip(SKIP_4) | instid1(VALU_DEP_4)
	v_dual_mul_f32 v141, 0x3f7d64f0, v194 :: v_dual_add_f32 v100, v102, v101
	v_fmamk_f32 v116, v111, 0x3f7d64f0, v143
	v_fmac_f32_e32 v143, 0xbf7d64f0, v111
	v_add_f32_e32 v111, v96, v120
	v_dual_add_f32 v127, v102, v124 :: v_dual_add_f32 v124, v108, v122
	v_add_f32_e32 v218, v116, v130
	v_sub_f32_e32 v116, v118, v171
	s_delay_alu instid0(VALU_DEP_4) | instskip(SKIP_3) | instid1(VALU_DEP_4)
	v_fma_f32 v130, 0xbf27a4f4, v111, -v183
	v_add_f32_e32 v220, v143, v220
	v_fma_f32 v137, 0xbe11bafb, v124, -v132
	v_mul_f32_e32 v131, 0xbf68dda4, v187
	v_dual_fmamk_f32 v125, v116, 0xbf68dda4, v185 :: v_dual_add_f32 v130, v130, v127
	v_sub_f32_e32 v127, v112, v98
	s_delay_alu instid0(VALU_DEP_3) | instskip(SKIP_1) | instid1(VALU_DEP_4)
	v_fma_f32 v126, 0x3ed4b147, v111, -v131
	v_mul_f32_e32 v133, 0x3f575c64, v189
	v_add_f32_e32 v129, v103, v125
	v_sub_f32_e32 v125, v122, v108
	s_delay_alu instid0(VALU_DEP_3)
	v_dual_add_f32 v100, v126, v100 :: v_dual_fmamk_f32 v101, v116, 0xbf0a6770, v133
	v_fmamk_f32 v126, v117, 0xbf68dda4, v136
	ds_store_2addr_b64 v176, v[104:105], v[201:202] offset1:1
	ds_store_2addr_b64 v176, v[205:206], v[209:210] offset0:2 offset1:3
	ds_store_2addr_b64 v176, v[213:214], v[217:218] offset0:4 offset1:5
	;; [unrolled: 1-line block ×4, first 2 shown]
	ds_store_b64 v176, v[203:204] offset:80
	v_add_f32_e32 v100, v137, v100
	v_fma_f32 v137, 0xbf75a155, v124, -v186
	s_delay_alu instid0(VALU_DEP_1) | instskip(SKIP_1) | instid1(VALU_DEP_1)
	v_dual_mul_f32 v191, 0xbf27a4f4, v192 :: v_dual_add_f32 v130, v137, v130
	v_add_f32_e32 v101, v103, v101
	v_dual_add_f32 v101, v126, v101 :: v_dual_fmamk_f32 v126, v125, 0xbf7d64f0, v135
	s_delay_alu instid0(VALU_DEP_3) | instskip(NEXT) | instid1(VALU_DEP_1)
	v_fmamk_f32 v134, v117, 0xbf4178ce, v191
	v_dual_add_f32 v129, v134, v129 :: v_dual_mul_f32 v134, 0xbf4178ce, v194
	s_delay_alu instid0(VALU_DEP_3) | instskip(SKIP_1) | instid1(VALU_DEP_1)
	v_dual_fmamk_f32 v142, v125, 0x3e903f40, v193 :: v_dual_add_f32 v101, v126, v101
	v_add_f32_e32 v126, v98, v112
	v_fma_f32 v184, 0xbf27a4f4, v126, -v134
	v_fma_f32 v188, 0xbe11bafb, v126, -v141
	s_delay_alu instid0(VALU_DEP_2)
	v_add_f32_e32 v100, v184, v100
	v_add_f32_e32 v142, v142, v129
	v_mul_f32_e32 v184, 0xbf75a155, v199
	v_fmamk_f32 v222, v127, 0x3f7d64f0, v195
	v_mul_f32_e32 v139, 0xbf27a4f4, v200
	v_dual_add_f32 v221, v188, v130 :: v_dual_mul_f32 v188, 0x3f0a6770, v197
	v_add_f32_e32 v129, v106, v114
	s_delay_alu instid0(VALU_DEP_3) | instskip(SKIP_1) | instid1(VALU_DEP_3)
	v_dual_add_f32 v222, v222, v142 :: v_dual_fmamk_f32 v137, v127, 0xbf4178ce, v139
	v_sub_f32_e32 v130, v114, v106
	v_fma_f32 v224, 0x3f575c64, v129, -v188
	s_delay_alu instid0(VALU_DEP_3) | instskip(SKIP_1) | instid1(VALU_DEP_4)
	v_add_f32_e32 v101, v137, v101
	v_mul_f32_e32 v137, 0xbe903f40, v197
	v_fmamk_f32 v223, v130, 0xbe903f40, v184
	v_fmamk_f32 v225, v130, 0x3f0a6770, v198
	s_delay_alu instid0(VALU_DEP_3) | instskip(NEXT) | instid1(VALU_DEP_3)
	v_fma_f32 v142, 0xbf75a155, v129, -v137
	v_add_f32_e32 v101, v223, v101
	s_delay_alu instid0(VALU_DEP_2)
	v_dual_add_f32 v143, v225, v222 :: v_dual_add_f32 v100, v142, v100
	v_add_f32_e32 v142, v224, v221
	s_and_saveexec_b32 s1, vcc_lo
	s_cbranch_execz .LBB0_17
; %bb.16:
	v_mul_f32_e32 v201, 0xbf4178ce, v116
	v_mul_f32_e32 v203, 0x3f7d64f0, v117
	v_dual_mul_f32 v205, 0xbf0a6770, v116 :: v_dual_mul_f32 v204, 0xbf0a6770, v125
	v_dual_mul_f32 v211, 0xbf4178ce, v117 :: v_dual_mul_f32 v222, 0xbf4178ce, v140
	s_delay_alu instid0(VALU_DEP_4) | instskip(SKIP_3) | instid1(VALU_DEP_4)
	v_fmamk_f32 v104, v189, 0xbf27a4f4, v201
	v_mul_f32_e32 v209, 0xbf68dda4, v117
	v_dual_mul_f32 v212, 0xbe11bafb, v124 :: v_dual_fmamk_f32 v105, v192, 0xbe11bafb, v203
	v_mul_f32_e32 v176, 0x3f575c64, v110
	v_dual_add_f32 v104, v103, v104 :: v_dual_mul_f32 v213, 0xbf7d64f0, v125
	v_mul_f32_e32 v223, 0xbe903f40, v127
	v_fma_f32 v202, 0xbf27a4f4, v110, -v222
	s_delay_alu instid0(VALU_DEP_3) | instskip(SKIP_1) | instid1(VALU_DEP_3)
	v_dual_mul_f32 v225, 0x3f7d64f0, v187 :: v_dual_add_f32 v104, v105, v104
	v_fmamk_f32 v105, v196, 0x3f575c64, v204
	v_dual_mul_f32 v207, 0xbf68dda4, v116 :: v_dual_add_f32 v202, v102, v202
	v_mul_f32_e32 v214, 0xbf75a155, v124
	s_delay_alu instid0(VALU_DEP_3)
	v_dual_mul_f32 v215, 0x3e903f40, v125 :: v_dual_add_f32 v104, v105, v104
	v_fmamk_f32 v105, v200, 0xbf75a155, v223
	v_fma_f32 v227, 0xbe11bafb, v111, -v225
	v_mul_f32_e32 v229, 0xbf75a155, v189
	v_mul_f32_e32 v232, 0x3f575c64, v192
	;; [unrolled: 1-line block ×4, first 2 shown]
	v_dual_add_f32 v104, v105, v104 :: v_dual_add_f32 v105, v227, v202
	v_mul_f32_e32 v230, 0x3f68dda4, v130
	v_mul_f32_e32 v227, 0xbe903f40, v194
	v_fmamk_f32 v235, v117, 0xbf0a6770, v232
	v_fma_f32 v202, 0x3f575c64, v124, -v228
	v_fmac_f32_e32 v222, 0xbf27a4f4, v110
	v_fmamk_f32 v231, v116, 0x3e903f40, v229
	v_dual_mul_f32 v206, 0x3ed4b147, v110 :: v_dual_fmamk_f32 v233, v199, 0x3ed4b147, v230
	s_delay_alu instid0(VALU_DEP_4) | instskip(SKIP_4) | instid1(VALU_DEP_4)
	v_add_f32_e32 v202, v202, v105
	v_fma_f32 v234, 0xbf75a155, v126, -v227
	v_add_f32_e32 v222, v102, v222
	v_dual_mul_f32 v216, 0xbf27a4f4, v126 :: v_dual_add_f32 v231, v103, v231
	v_dual_mul_f32 v210, 0xbf27a4f4, v111 :: v_dual_add_f32 v105, v233, v104
	;; [unrolled: 1-line block ×3, first 2 shown]
	s_delay_alu instid0(VALU_DEP_3)
	v_dual_mul_f32 v221, 0xbe903f40, v130 :: v_dual_add_f32 v202, v235, v231
	v_mul_f32_e32 v235, 0x3f68dda4, v197
	v_fma_f32 v201, 0xbf27a4f4, v189, -v201
	v_mul_f32_e32 v236, 0xbf27a4f4, v196
	v_fma_f32 v203, 0xbe11bafb, v192, -v203
	v_fma_f32 v204, 0x3f575c64, v196, -v204
	v_fma_f32 v242, 0x3ed4b147, v129, -v235
	v_dual_add_f32 v201, v103, v201 :: v_dual_mul_f32 v238, 0x3f0a6770, v187
	v_dual_mul_f32 v196, 0x3ed4b147, v196 :: v_dual_fmac_f32 v235, 0x3ed4b147, v129
	s_delay_alu instid0(VALU_DEP_3) | instskip(NEXT) | instid1(VALU_DEP_3)
	v_dual_add_f32 v104, v242, v104 :: v_dual_fmac_f32 v225, 0xbe11bafb, v111
	v_add_f32_e32 v203, v203, v201
	v_mul_f32_e32 v233, 0xbe903f40, v140
	v_mul_f32_e32 v242, 0x3f68dda4, v194
	v_fmac_f32_e32 v228, 0x3f575c64, v124
	v_add_f32_e32 v222, v225, v222
	v_fmamk_f32 v231, v125, 0x3f4178ce, v236
	v_mul_f32_e32 v225, 0xbe11bafb, v189
	v_dual_add_f32 v189, v204, v203 :: v_dual_mul_f32 v234, 0x3ed4b147, v200
	s_delay_alu instid0(VALU_DEP_4) | instskip(NEXT) | instid1(VALU_DEP_4)
	v_dual_add_f32 v204, v228, v222 :: v_dual_mul_f32 v219, 0x3f7d64f0, v127
	v_add_f32_e32 v202, v231, v202
	v_dual_mul_f32 v218, 0xbe11bafb, v126 :: v_dual_mul_f32 v239, 0xbe11bafb, v199
	s_delay_alu instid0(VALU_DEP_4) | instskip(SKIP_2) | instid1(VALU_DEP_3)
	v_fmamk_f32 v231, v127, 0xbf68dda4, v234
	v_dual_mul_f32 v220, 0xbf75a155, v129 :: v_dual_fmamk_f32 v237, v110, 0xbf75a155, v233
	v_dual_fmac_f32 v227, 0xbf75a155, v126 :: v_dual_mul_f32 v192, 0xbf75a155, v192
	v_add_f32_e32 v202, v231, v202
	v_fma_f32 v203, 0xbf75a155, v200, -v223
	s_delay_alu instid0(VALU_DEP_3) | instskip(SKIP_2) | instid1(VALU_DEP_3)
	v_dual_fmamk_f32 v222, v116, 0x3f7d64f0, v225 :: v_dual_add_f32 v223, v227, v204
	v_dual_add_f32 v237, v102, v237 :: v_dual_fmamk_f32 v240, v111, 0x3f575c64, v238
	v_mul_f32_e32 v241, 0xbf4178ce, v190
	v_dual_fmamk_f32 v231, v130, 0x3f7d64f0, v239 :: v_dual_add_f32 v222, v103, v222
	v_add_f32_e32 v189, v203, v189
	v_fma_f32 v203, 0x3ed4b147, v199, -v230
	v_dual_fmamk_f32 v227, v117, 0xbe903f40, v192 :: v_dual_add_f32 v138, v206, v138
	v_dual_mul_f32 v226, 0x3f0a6770, v130 :: v_dual_add_f32 v237, v240, v237
	s_delay_alu instid0(VALU_DEP_3) | instskip(NEXT) | instid1(VALU_DEP_2)
	v_dual_add_f32 v204, v203, v189 :: v_dual_fmamk_f32 v189, v125, 0xbf68dda4, v196
	v_dual_add_f32 v203, v235, v223 :: v_dual_sub_f32 v198, v198, v226
	v_dual_sub_f32 v185, v185, v207 :: v_dual_mul_f32 v228, 0xbf7d64f0, v140
	v_add_f32_e32 v140, v227, v222
	v_dual_mul_f32 v223, 0x3f68dda4, v190 :: v_dual_sub_f32 v190, v191, v211
	s_delay_alu instid0(VALU_DEP_3) | instskip(NEXT) | instid1(VALU_DEP_4)
	v_dual_fmamk_f32 v240, v124, 0xbf27a4f4, v241 :: v_dual_add_f32 v185, v103, v185
	v_fmamk_f32 v222, v110, 0xbe11bafb, v228
	s_delay_alu instid0(VALU_DEP_4) | instskip(NEXT) | instid1(VALU_DEP_3)
	v_dual_add_f32 v140, v189, v140 :: v_dual_mul_f32 v187, 0x3e903f40, v187
	v_dual_add_f32 v202, v231, v202 :: v_dual_add_f32 v231, v240, v237
	s_delay_alu instid0(VALU_DEP_3) | instskip(NEXT) | instid1(VALU_DEP_3)
	v_dual_mul_f32 v240, 0xbf7d64f0, v197 :: v_dual_add_f32 v207, v102, v222
	v_dual_fmamk_f32 v222, v111, 0xbf75a155, v187 :: v_dual_add_f32 v185, v190, v185
	v_mul_f32_e32 v200, 0x3f575c64, v200
	v_dual_fmamk_f32 v237, v126, 0x3ed4b147, v242 :: v_dual_sub_f32 v190, v193, v215
	v_mul_f32_e32 v224, 0x3f575c64, v129
	v_sub_f32_e32 v133, v133, v205
	s_delay_alu instid0(VALU_DEP_4) | instskip(NEXT) | instid1(VALU_DEP_4)
	v_fmamk_f32 v189, v127, 0x3f0a6770, v200
	v_add_f32_e32 v231, v237, v231
	v_fmamk_f32 v237, v129, 0xbe11bafb, v240
	v_dual_add_f32 v185, v190, v185 :: v_dual_sub_f32 v190, v195, v219
	s_delay_alu instid0(VALU_DEP_4) | instskip(SKIP_1) | instid1(VALU_DEP_3)
	v_dual_add_f32 v140, v189, v140 :: v_dual_add_f32 v189, v222, v207
	v_dual_add_f32 v138, v102, v138 :: v_dual_add_f32 v133, v103, v133
	v_add_f32_e32 v185, v190, v185
	v_dual_mul_f32 v193, 0xbf27a4f4, v199 :: v_dual_sub_f32 v136, v136, v209
	v_dual_mul_f32 v197, 0xbf4178ce, v197 :: v_dual_add_f32 v118, v118, v102
	v_add_f32_e32 v119, v119, v103
	s_delay_alu instid0(VALU_DEP_3) | instskip(NEXT) | instid1(VALU_DEP_4)
	v_fmamk_f32 v195, v130, 0x3f4178ce, v193
	v_add_f32_e32 v133, v136, v133
	s_delay_alu instid0(VALU_DEP_4) | instskip(SKIP_1) | instid1(VALU_DEP_4)
	v_dual_add_f32 v183, v210, v183 :: v_dual_add_f32 v118, v120, v118
	v_sub_f32_e32 v120, v135, v213
	v_dual_add_f32 v190, v195, v140 :: v_dual_fmamk_f32 v191, v124, 0x3ed4b147, v223
	v_mul_f32_e32 v194, 0xbf0a6770, v194
	s_delay_alu instid0(VALU_DEP_4) | instskip(SKIP_1) | instid1(VALU_DEP_4)
	v_add_f32_e32 v138, v183, v138
	v_dual_add_f32 v118, v122, v118 :: v_dual_fmac_f32 v229, 0xbe903f40, v116
	v_add_f32_e32 v189, v191, v189
	s_delay_alu instid0(VALU_DEP_4) | instskip(SKIP_1) | instid1(VALU_DEP_4)
	v_fmamk_f32 v191, v126, 0x3f575c64, v194
	v_dual_add_f32 v183, v214, v186 :: v_dual_sub_f32 v122, v139, v217
	v_add_f32_e32 v112, v112, v118
	s_delay_alu instid0(VALU_DEP_3) | instskip(SKIP_2) | instid1(VALU_DEP_4)
	v_dual_add_f32 v118, v176, v128 :: v_dual_add_f32 v189, v191, v189
	v_fmamk_f32 v191, v129, 0xbf27a4f4, v197
	v_fmac_f32_e32 v232, 0x3f0a6770, v117
	v_dual_add_f32 v112, v114, v112 :: v_dual_add_f32 v119, v121, v119
	s_delay_alu instid0(VALU_DEP_3) | instskip(SKIP_1) | instid1(VALU_DEP_3)
	v_dual_add_f32 v114, v102, v118 :: v_dual_add_f32 v189, v191, v189
	v_add_f32_e32 v120, v120, v133
	v_dual_add_f32 v106, v106, v112 :: v_dual_add_f32 v119, v123, v119
	v_dual_add_f32 v138, v183, v138 :: v_dual_add_f32 v141, v218, v141
	v_add_f32_e32 v118, v208, v131
	s_delay_alu instid0(VALU_DEP_3) | instskip(SKIP_1) | instid1(VALU_DEP_4)
	v_dual_add_f32 v98, v98, v106 :: v_dual_add_f32 v113, v113, v119
	v_dual_add_f32 v106, v103, v229 :: v_dual_add_f32 v119, v122, v120
	v_add_f32_e32 v121, v141, v138
	s_delay_alu instid0(VALU_DEP_3) | instskip(NEXT) | instid1(VALU_DEP_3)
	v_dual_add_f32 v98, v108, v98 :: v_dual_add_f32 v115, v115, v113
	v_add_f32_e32 v106, v232, v106
	v_dual_add_f32 v135, v224, v188 :: v_dual_add_f32 v112, v118, v114
	s_delay_alu instid0(VALU_DEP_3) | instskip(SKIP_1) | instid1(VALU_DEP_3)
	v_dual_sub_f32 v120, v184, v221 :: v_dual_add_f32 v107, v107, v115
	v_add_f32_e32 v114, v212, v132
	v_dual_add_f32 v96, v96, v98 :: v_dual_add_f32 v139, v135, v121
	s_delay_alu instid0(VALU_DEP_3) | instskip(NEXT) | instid1(VALU_DEP_4)
	v_dual_add_f32 v113, v120, v119 :: v_dual_fmac_f32 v236, 0xbf4178ce, v125
	v_add_f32_e32 v99, v99, v107
	s_delay_alu instid0(VALU_DEP_4) | instskip(NEXT) | instid1(VALU_DEP_4)
	v_dual_add_f32 v107, v114, v112 :: v_dual_add_f32 v112, v216, v134
	v_add_f32_e32 v96, v171, v96
	s_delay_alu instid0(VALU_DEP_3)
	v_dual_add_f32 v98, v236, v106 :: v_dual_add_f32 v99, v109, v99
	v_add_f32_e32 v108, v220, v137
	v_fmac_f32_e32 v192, 0x3e903f40, v117
	v_fmac_f32_e32 v225, 0xbf7d64f0, v116
	v_fma_f32 v106, 0xbe11bafb, v110, -v228
	v_add_f32_e32 v97, v97, v99
	v_fmac_f32_e32 v234, 0x3f68dda4, v127
	v_fma_f32 v99, 0xbf75a155, v110, -v233
	v_add_f32_e32 v103, v103, v225
	v_fmac_f32_e32 v196, 0x3f68dda4, v125
	v_add_f32_e32 v97, v172, v97
	v_dual_add_f32 v107, v112, v107 :: v_dual_add_f32 v98, v234, v98
	v_add_f32_e32 v99, v102, v99
	v_add_f32_e32 v102, v102, v106
	v_fma_f32 v106, 0xbf75a155, v111, -v187
	s_delay_alu instid0(VALU_DEP_4)
	v_add_f32_e32 v112, v108, v107
	v_fma_f32 v107, 0x3f575c64, v111, -v238
	v_fma_f32 v108, 0xbe11bafb, v129, -v240
	v_add_f32_e32 v140, v198, v185
	v_add_f32_e32 v102, v106, v102
	v_fma_f32 v106, 0x3ed4b147, v124, -v223
	v_add_f32_e32 v99, v107, v99
	v_fma_f32 v107, 0xbf27a4f4, v124, -v241
	v_add_f32_e32 v103, v192, v103
	v_fmac_f32_e32 v193, 0xbf4178ce, v130
	v_add_f32_e32 v102, v106, v102
	v_fma_f32 v106, 0x3f575c64, v126, -v194
	v_add_f32_e32 v99, v107, v99
	v_fma_f32 v107, 0x3ed4b147, v126, -v242
	v_lshlrev_b32_e32 v109, 3, v175
	s_delay_alu instid0(VALU_DEP_4)
	v_dual_add_f32 v201, v237, v231 :: v_dual_add_f32 v102, v106, v102
	v_fma_f32 v106, 0xbf27a4f4, v129, -v197
	v_add_f32_e32 v103, v196, v103
	v_add_f32_e32 v107, v107, v99
	v_fmac_f32_e32 v239, 0xbf7d64f0, v130
	v_fmac_f32_e32 v200, 0xbf0a6770, v127
	v_add_f32_e32 v102, v106, v102
	s_delay_alu instid0(VALU_DEP_3) | instskip(NEXT) | instid1(VALU_DEP_3)
	v_add_f32_e32 v99, v239, v98
	v_add_f32_e32 v103, v200, v103
	;; [unrolled: 1-line block ×3, first 2 shown]
	s_delay_alu instid0(VALU_DEP_2)
	v_add_f32_e32 v103, v193, v103
	ds_store_2addr_b64 v109, v[96:97], v[112:113] offset1:1
	ds_store_2addr_b64 v109, v[139:140], v[189:190] offset0:2 offset1:3
	ds_store_2addr_b64 v109, v[203:204], v[201:202] offset0:4 offset1:5
	;; [unrolled: 1-line block ×4, first 2 shown]
	ds_store_b64 v109, v[100:101] offset:80
.LBB0_17:
	s_wait_alu 0xfffe
	s_or_b32 exec_lo, exec_lo, s1
	v_add_nc_u32_e32 v96, 0x400, v173
	v_add_nc_u32_e32 v97, 0xc00, v173
	;; [unrolled: 1-line block ×3, first 2 shown]
	global_wb scope:SCOPE_SE
	s_wait_dscnt 0x0
	s_barrier_signal -1
	s_barrier_wait -1
	global_inv scope:SCOPE_SE
	ds_load_2addr_b64 v[102:105], v173 offset1:55
	v_add_nc_u32_e32 v99, 0x1800, v173
	ds_load_2addr_b64 v[138:141], v96 offset0:103 offset1:158
	ds_load_2addr_b64 v[134:137], v97 offset0:78 offset1:133
	v_add_nc_u32_e32 v96, 0x800, v173
	v_add_nc_u32_e32 v97, 0x2000, v173
	ds_load_2addr_b64 v[130:133], v98 offset0:181 offset1:236
	ds_load_2addr_b64 v[126:129], v99 offset0:156 offset1:211
	;; [unrolled: 1-line block ×7, first 2 shown]
	s_and_saveexec_b32 s1, s0
	s_cbranch_execz .LBB0_19
; %bb.18:
	v_add_nc_u32_e32 v8, 0x680, v173
	ds_load_2addr_b64 v[98:101], v8 offset0:12 offset1:243
	v_add_nc_u32_e32 v8, 0x1500, v173
	ds_load_b64 v[169:170], v173 offset:9152
	ds_load_2addr_b64 v[8:11], v8 offset0:10 offset1:241
	s_wait_dscnt 0x2
	v_dual_mov_b32 v143, v99 :: v_dual_mov_b32 v142, v98
.LBB0_19:
	s_wait_alu 0xfffe
	s_or_b32 exec_lo, exec_lo, s1
	s_wait_dscnt 0x7
	v_mul_f32_e32 v97, v43, v135
	v_mul_f32_e32 v96, v41, v139
	s_wait_dscnt 0x5
	v_dual_mul_f32 v41, v41, v138 :: v_dual_mul_f32 v98, v39, v127
	v_mul_f32_e32 v39, v39, v126
	v_fmac_f32_e32 v97, v42, v134
	v_fmac_f32_e32 v96, v40, v138
	s_delay_alu instid0(VALU_DEP_4)
	v_fma_f32 v40, v40, v139, -v41
	v_mul_f32_e32 v41, v43, v134
	v_dual_mul_f32 v43, v37, v131 :: v_dual_fmac_f32 v98, v38, v126
	v_mul_f32_e32 v37, v37, v130
	global_wb scope:SCOPE_SE
	s_wait_dscnt 0x0
	s_barrier_signal -1
	v_fmac_f32_e32 v43, v36, v130
	s_barrier_wait -1
	v_fma_f32 v36, v36, v131, -v37
	v_fma_f32 v37, v38, v127, -v39
	v_mul_f32_e32 v38, v33, v141
	v_fma_f32 v41, v42, v135, -v41
	v_mul_f32_e32 v33, v33, v140
	v_mul_f32_e32 v42, v29, v133
	;; [unrolled: 1-line block ×4, first 2 shown]
	v_fmac_f32_e32 v38, v32, v140
	v_fma_f32 v32, v32, v141, -v33
	v_fmac_f32_e32 v42, v28, v132
	v_fmac_f32_e32 v39, v34, v136
	v_fma_f32 v33, v34, v137, -v35
	v_mul_f32_e32 v34, v31, v129
	v_mul_f32_e32 v31, v31, v128
	;; [unrolled: 1-line block ×4, first 2 shown]
	s_delay_alu instid0(VALU_DEP_4) | instskip(SKIP_1) | instid1(VALU_DEP_3)
	v_dual_mul_f32 v21, v21, v114 :: v_dual_fmac_f32 v34, v30, v128
	v_dual_mul_f32 v128, v23, v111 :: v_dual_mul_f32 v29, v29, v132
	v_fmac_f32_e32 v127, v20, v114
	s_delay_alu instid0(VALU_DEP_3) | instskip(SKIP_1) | instid1(VALU_DEP_4)
	v_fma_f32 v114, v20, v115, -v21
	v_mul_f32_e32 v20, v23, v110
	v_fmac_f32_e32 v128, v22, v110
	v_mul_f32_e32 v110, v17, v125
	v_mul_f32_e32 v25, v25, v122
	;; [unrolled: 1-line block ×3, first 2 shown]
	v_sub_f32_e32 v21, v41, v36
	v_mul_f32_e32 v19, v19, v120
	v_fmac_f32_e32 v35, v24, v122
	v_fma_f32 v111, v22, v111, -v20
	v_fmac_f32_e32 v110, v16, v124
	v_fma_f32 v122, v24, v123, -v25
	v_mul_f32_e32 v123, v27, v119
	v_mul_f32_e32 v24, v27, v118
	v_dual_add_f32 v22, v96, v98 :: v_dual_fmac_f32 v115, v18, v120
	v_fma_f32 v120, v18, v121, -v19
	v_sub_f32_e32 v19, v40, v37
	v_mul_f32_e32 v17, v17, v124
	v_mul_f32_e32 v121, v13, v117
	;; [unrolled: 1-line block ×3, first 2 shown]
	v_add_f32_e32 v18, v102, v96
	v_fmac_f32_e32 v123, v26, v118
	v_fma_f32 v118, v26, v119, -v24
	v_fma_f32 v119, v16, v125, -v17
	v_mul_f32_e32 v17, v13, v116
	v_mul_f32_e32 v15, v15, v112
	v_fmac_f32_e32 v124, v14, v112
	v_sub_f32_e32 v20, v98, v43
	v_add_f32_e32 v16, v97, v43
	v_add_f32_e32 v24, v103, v40
	v_fma_f32 v15, v14, v113, -v15
	v_sub_f32_e32 v14, v97, v96
	v_fmac_f32_e32 v121, v12, v116
	v_fma_f32 v12, v12, v117, -v17
	v_add_f32_e32 v17, v18, v97
	v_sub_f32_e32 v18, v96, v97
	v_fma_f32 v13, -0.5, v16, v102
	v_add_f32_e32 v25, v41, v36
	v_fma_f32 v99, v28, v133, -v29
	v_dual_sub_f32 v28, v36, v37 :: v_dual_add_f32 v17, v17, v43
	v_add_f32_e32 v23, v18, v20
	v_fma_f32 v18, -0.5, v22, v102
	v_sub_f32_e32 v27, v97, v43
	v_fma_f32 v126, v30, v129, -v31
	v_add_f32_e32 v20, v17, v98
	s_delay_alu instid0(VALU_DEP_4) | instskip(SKIP_2) | instid1(VALU_DEP_3)
	v_dual_sub_f32 v17, v43, v98 :: v_dual_fmamk_f32 v22, v21, 0x3f737871, v18
	v_fmamk_f32 v16, v19, 0xbf737871, v13
	v_dual_fmac_f32 v13, 0x3f737871, v19 :: v_dual_add_f32 v30, v104, v38
	v_add_f32_e32 v26, v14, v17
	s_delay_alu instid0(VALU_DEP_4) | instskip(SKIP_3) | instid1(VALU_DEP_4)
	v_dual_fmac_f32 v22, 0xbf167918, v19 :: v_dual_add_f32 v17, v24, v41
	v_sub_f32_e32 v24, v37, v36
	v_fma_f32 v14, -0.5, v25, v103
	v_sub_f32_e32 v25, v96, v98
	v_fmac_f32_e32 v22, 0x3e9e377a, v26
	v_fmac_f32_e32 v16, 0xbf167918, v21
	;; [unrolled: 1-line block ×3, first 2 shown]
	v_dual_fmac_f32 v18, 0xbf737871, v21 :: v_dual_sub_f32 v31, v33, v99
	v_add_f32_e32 v29, v39, v42
	global_inv scope:SCOPE_SE
	v_add_f32_e32 v96, v118, v114
	v_fmac_f32_e32 v18, 0x3f167918, v19
	v_fmac_f32_e32 v16, 0x3e9e377a, v23
	;; [unrolled: 1-line block ×3, first 2 shown]
	v_dual_sub_f32 v23, v40, v41 :: v_dual_sub_f32 v98, v114, v111
	s_delay_alu instid0(VALU_DEP_4) | instskip(SKIP_2) | instid1(VALU_DEP_4)
	v_fmac_f32_e32 v18, 0x3e9e377a, v26
	v_sub_f32_e32 v102, v124, v121
	v_sub_f32_e32 v112, v120, v119
	v_add_f32_e32 v26, v23, v24
	v_sub_f32_e32 v24, v41, v40
	v_add_f32_e32 v21, v17, v36
	v_fmamk_f32 v17, v25, 0x3f737871, v14
	v_fmac_f32_e32 v14, 0xbf737871, v25
	v_sub_f32_e32 v36, v34, v42
	s_delay_alu instid0(VALU_DEP_4) | instskip(NEXT) | instid1(VALU_DEP_4)
	v_dual_add_f32 v28, v24, v28 :: v_dual_add_f32 v21, v21, v37
	v_fmac_f32_e32 v17, 0x3f167918, v27
	s_delay_alu instid0(VALU_DEP_4) | instskip(SKIP_3) | instid1(VALU_DEP_4)
	v_dual_fmac_f32 v14, 0xbf167918, v27 :: v_dual_add_f32 v19, v40, v37
	v_add_f32_e32 v37, v38, v34
	v_fma_f32 v24, -0.5, v29, v104
	v_add_f32_e32 v40, v33, v99
	v_fmac_f32_e32 v14, 0x3e9e377a, v26
	v_fma_f32 v19, -0.5, v19, v103
	v_fma_f32 v104, -0.5, v37, v104
	v_sub_f32_e32 v29, v32, v126
	v_add_f32_e32 v37, v105, v32
	v_sub_f32_e32 v41, v122, v111
	v_fmamk_f32 v23, v27, 0xbf737871, v19
	v_fmac_f32_e32 v19, 0x3f737871, v27
	v_add_f32_e32 v27, v30, v39
	v_dual_sub_f32 v30, v38, v39 :: v_dual_sub_f32 v103, v120, v12
	s_delay_alu instid0(VALU_DEP_4) | instskip(NEXT) | instid1(VALU_DEP_4)
	v_fmac_f32_e32 v23, 0x3f167918, v25
	v_fmac_f32_e32 v19, 0xbf167918, v25
	s_delay_alu instid0(VALU_DEP_4) | instskip(NEXT) | instid1(VALU_DEP_4)
	v_add_f32_e32 v25, v27, v42
	v_dual_add_f32 v27, v30, v36 :: v_dual_fmamk_f32 v30, v31, 0x3f737871, v104
	s_delay_alu instid0(VALU_DEP_4) | instskip(NEXT) | instid1(VALU_DEP_3)
	v_fmac_f32_e32 v23, 0x3e9e377a, v28
	v_dual_fmac_f32 v19, 0x3e9e377a, v28 :: v_dual_add_f32 v28, v25, v34
	v_sub_f32_e32 v25, v39, v38
	v_sub_f32_e32 v36, v42, v34
	v_dual_fmac_f32 v30, 0xbf167918, v29 :: v_dual_sub_f32 v97, v111, v114
	s_delay_alu instid0(VALU_DEP_2) | instskip(SKIP_2) | instid1(VALU_DEP_3)
	v_add_f32_e32 v36, v25, v36
	v_fma_f32 v25, -0.5, v40, v105
	v_sub_f32_e32 v40, v128, v127
	v_fmac_f32_e32 v30, 0x3e9e377a, v36
	v_fmac_f32_e32 v104, 0xbf737871, v31
	s_delay_alu instid0(VALU_DEP_1) | instskip(SKIP_3) | instid1(VALU_DEP_4)
	v_fmac_f32_e32 v104, 0x3f167918, v29
	v_fmac_f32_e32 v17, 0x3e9e377a, v26
	v_fmamk_f32 v26, v29, 0xbf737871, v24
	v_fmac_f32_e32 v24, 0x3f737871, v29
	v_fmac_f32_e32 v104, 0x3e9e377a, v36
	s_delay_alu instid0(VALU_DEP_3) | instskip(NEXT) | instid1(VALU_DEP_3)
	v_fmac_f32_e32 v26, 0xbf167918, v31
	v_dual_fmac_f32 v24, 0x3f167918, v31 :: v_dual_add_f32 v31, v37, v33
	v_sub_f32_e32 v37, v38, v34
	v_sub_f32_e32 v34, v39, v42
	v_dual_sub_f32 v38, v32, v33 :: v_dual_sub_f32 v39, v126, v99
	v_add_f32_e32 v42, v35, v128
	v_fmac_f32_e32 v26, 0x3e9e377a, v27
	v_fmac_f32_e32 v24, 0x3e9e377a, v27
	v_add_f32_e32 v29, v31, v99
	v_add_f32_e32 v36, v38, v39
	;; [unrolled: 1-line block ×3, first 2 shown]
	v_dual_add_f32 v31, v32, v126 :: v_dual_sub_f32 v32, v33, v32
	v_dual_fmamk_f32 v27, v37, 0x3f737871, v25 :: v_dual_add_f32 v38, v123, v127
	v_fmac_f32_e32 v25, 0xbf737871, v37
	s_delay_alu instid0(VALU_DEP_2) | instskip(NEXT) | instid1(VALU_DEP_2)
	v_fmac_f32_e32 v27, 0x3f167918, v34
	v_fmac_f32_e32 v25, 0xbf167918, v34
	s_delay_alu instid0(VALU_DEP_2) | instskip(NEXT) | instid1(VALU_DEP_2)
	v_fmac_f32_e32 v27, 0x3e9e377a, v36
	v_dual_fmac_f32 v25, 0x3e9e377a, v36 :: v_dual_add_f32 v36, v39, v123
	v_fmac_f32_e32 v105, -0.5, v31
	v_sub_f32_e32 v39, v118, v114
	v_sub_f32_e32 v33, v99, v126
	v_add_f32_e32 v99, v115, v121
	s_delay_alu instid0(VALU_DEP_4) | instskip(SKIP_1) | instid1(VALU_DEP_4)
	v_fmamk_f32 v31, v34, 0xbf737871, v105
	v_fmac_f32_e32 v105, 0x3f737871, v34
	v_add_f32_e32 v33, v32, v33
	v_fma_f32 v32, -0.5, v38, v106
	s_delay_alu instid0(VALU_DEP_3) | instskip(NEXT) | instid1(VALU_DEP_2)
	v_dual_sub_f32 v38, v35, v123 :: v_dual_fmac_f32 v105, 0xbf167918, v37
	v_fmamk_f32 v34, v41, 0xbf737871, v32
	v_dual_add_f32 v29, v29, v126 :: v_dual_fmac_f32 v32, 0x3f737871, v41
	v_fmac_f32_e32 v31, 0x3f167918, v37
	v_add_f32_e32 v37, v36, v127
	v_fma_f32 v36, -0.5, v42, v106
	s_delay_alu instid0(VALU_DEP_4) | instskip(SKIP_1) | instid1(VALU_DEP_4)
	v_dual_add_f32 v43, v38, v40 :: v_dual_fmac_f32 v32, 0x3f167918, v39
	v_add_f32_e32 v42, v107, v122
	v_add_f32_e32 v38, v37, v128
	s_delay_alu instid0(VALU_DEP_4) | instskip(SKIP_4) | instid1(VALU_DEP_1)
	v_fmamk_f32 v40, v39, 0x3f737871, v36
	v_fmac_f32_e32 v31, 0x3e9e377a, v33
	v_fmac_f32_e32 v105, 0x3e9e377a, v33
	v_sub_f32_e32 v33, v123, v35
	v_sub_f32_e32 v37, v127, v128
	v_dual_add_f32 v106, v110, v124 :: v_dual_add_f32 v37, v33, v37
	v_fma_f32 v33, -0.5, v96, v107
	v_sub_f32_e32 v96, v35, v128
	v_fmac_f32_e32 v40, 0xbf167918, v41
	s_delay_alu instid0(VALU_DEP_2) | instskip(NEXT) | instid1(VALU_DEP_2)
	v_fmamk_f32 v35, v96, 0x3f737871, v33
	v_fmac_f32_e32 v40, 0x3e9e377a, v37
	v_fmac_f32_e32 v36, 0xbf737871, v39
	v_dual_fmac_f32 v34, 0xbf167918, v39 :: v_dual_add_f32 v39, v42, v118
	v_dual_sub_f32 v42, v123, v127 :: v_dual_fmac_f32 v33, 0xbf737871, v96
	s_delay_alu instid0(VALU_DEP_1) | instskip(NEXT) | instid1(VALU_DEP_2)
	v_dual_fmac_f32 v36, 0x3f167918, v41 :: v_dual_fmac_f32 v35, 0x3f167918, v42
	v_fmac_f32_e32 v33, 0xbf167918, v42
	s_delay_alu instid0(VALU_DEP_2) | instskip(SKIP_2) | instid1(VALU_DEP_1)
	v_fmac_f32_e32 v36, 0x3e9e377a, v37
	v_fmac_f32_e32 v34, 0x3e9e377a, v43
	v_dual_fmac_f32 v32, 0x3e9e377a, v43 :: v_dual_sub_f32 v43, v122, v118
	v_add_f32_e32 v43, v43, v97
	v_sub_f32_e32 v97, v118, v122
	s_delay_alu instid0(VALU_DEP_2) | instskip(NEXT) | instid1(VALU_DEP_2)
	v_fmac_f32_e32 v35, 0x3e9e377a, v43
	v_add_f32_e32 v97, v97, v98
	v_dual_add_f32 v98, v108, v110 :: v_dual_fmac_f32 v33, 0x3e9e377a, v43
	s_delay_alu instid0(VALU_DEP_1) | instskip(NEXT) | instid1(VALU_DEP_1)
	v_add_f32_e32 v43, v98, v115
	v_dual_sub_f32 v98, v110, v115 :: v_dual_add_f32 v43, v43, v121
	v_add_f32_e32 v41, v122, v111
	s_delay_alu instid0(VALU_DEP_2) | instskip(NEXT) | instid1(VALU_DEP_3)
	v_add_f32_e32 v102, v98, v102
	v_add_f32_e32 v98, v43, v124
	s_delay_alu instid0(VALU_DEP_3) | instskip(SKIP_2) | instid1(VALU_DEP_3)
	v_fma_f32 v37, -0.5, v41, v107
	v_add_f32_e32 v43, v120, v12
	v_sub_f32_e32 v107, v110, v124
	v_fmamk_f32 v41, v42, 0xbf737871, v37
	v_fmac_f32_e32 v37, 0x3f737871, v42
	v_fma_f32 v42, -0.5, v99, v108
	v_sub_f32_e32 v99, v119, v15
	v_fma_f32 v108, -0.5, v106, v108
	v_fmac_f32_e32 v41, 0x3f167918, v96
	v_fmac_f32_e32 v37, 0xbf167918, v96
	v_sub_f32_e32 v106, v121, v124
	v_fmamk_f32 v96, v99, 0xbf737871, v42
	v_dual_fmac_f32 v42, 0x3f737871, v99 :: v_dual_add_f32 v39, v39, v114
	s_delay_alu instid0(VALU_DEP_4) | instskip(SKIP_1) | instid1(VALU_DEP_4)
	v_fmac_f32_e32 v37, 0x3e9e377a, v97
	v_fma_f32 v43, -0.5, v43, v109
	v_fmac_f32_e32 v96, 0xbf167918, v103
	s_delay_alu instid0(VALU_DEP_4) | instskip(SKIP_1) | instid1(VALU_DEP_3)
	v_fmac_f32_e32 v42, 0x3f167918, v103
	v_add_f32_e32 v39, v39, v111
	v_dual_sub_f32 v111, v15, v12 :: v_dual_fmac_f32 v96, 0x3e9e377a, v102
	s_delay_alu instid0(VALU_DEP_3) | instskip(SKIP_3) | instid1(VALU_DEP_2)
	v_fmac_f32_e32 v42, 0x3e9e377a, v102
	v_fmamk_f32 v102, v103, 0x3f737871, v108
	v_fmac_f32_e32 v108, 0xbf737871, v103
	v_add_f32_e32 v103, v109, v119
	v_fmac_f32_e32 v108, 0x3f167918, v99
	v_fmac_f32_e32 v41, 0x3e9e377a, v97
	v_sub_f32_e32 v97, v115, v110
	v_sub_f32_e32 v110, v115, v121
	s_delay_alu instid0(VALU_DEP_2) | instskip(SKIP_1) | instid1(VALU_DEP_2)
	v_dual_add_f32 v106, v97, v106 :: v_dual_fmamk_f32 v97, v107, 0x3f737871, v43
	v_fmac_f32_e32 v43, 0xbf737871, v107
	v_fmac_f32_e32 v108, 0x3e9e377a, v106
	v_dual_fmac_f32 v102, 0xbf167918, v99 :: v_dual_add_f32 v99, v103, v120
	v_add_f32_e32 v103, v119, v15
	v_fmac_f32_e32 v97, 0x3f167918, v110
	v_fmac_f32_e32 v43, 0xbf167918, v110
	s_delay_alu instid0(VALU_DEP_4) | instskip(SKIP_2) | instid1(VALU_DEP_2)
	v_dual_fmac_f32 v102, 0x3e9e377a, v106 :: v_dual_add_f32 v99, v99, v12
	v_sub_f32_e32 v12, v12, v15
	v_dual_fmac_f32 v109, -0.5, v103 :: v_dual_sub_f32 v106, v119, v120
	v_dual_add_f32 v99, v99, v15 :: v_dual_add_f32 v12, v112, v12
	s_delay_alu instid0(VALU_DEP_2) | instskip(NEXT) | instid1(VALU_DEP_3)
	v_fmamk_f32 v103, v110, 0xbf737871, v109
	v_dual_fmac_f32 v109, 0x3f737871, v110 :: v_dual_add_f32 v106, v106, v111
	s_delay_alu instid0(VALU_DEP_2) | instskip(NEXT) | instid1(VALU_DEP_2)
	v_fmac_f32_e32 v103, 0x3f167918, v107
	v_fmac_f32_e32 v109, 0xbf167918, v107
	s_delay_alu instid0(VALU_DEP_3) | instskip(SKIP_1) | instid1(VALU_DEP_4)
	v_fmac_f32_e32 v97, 0x3e9e377a, v106
	v_fmac_f32_e32 v43, 0x3e9e377a, v106
	v_fmac_f32_e32 v103, 0x3e9e377a, v12
	s_delay_alu instid0(VALU_DEP_4)
	v_fmac_f32_e32 v109, 0x3e9e377a, v12
	ds_store_2addr_b64 v179, v[20:21], v[16:17] offset1:11
	ds_store_2addr_b64 v179, v[22:23], v[18:19] offset0:22 offset1:33
	ds_store_b64 v179, v[13:14] offset:352
	ds_store_2addr_b64 v182, v[28:29], v[26:27] offset1:11
	ds_store_2addr_b64 v182, v[30:31], v[104:105] offset0:22 offset1:33
	ds_store_b64 v182, v[24:25] offset:352
	;; [unrolled: 3-line block ×4, first 2 shown]
	s_and_saveexec_b32 s1, s0
	s_cbranch_execz .LBB0_21
; %bb.20:
	v_dual_mul_f32 v12, v5, v100 :: v_dual_mul_f32 v13, v3, v169
	v_mul_f32_e32 v14, v7, v8
	v_dual_mul_f32 v15, v7, v9 :: v_dual_mul_f32 v16, v1, v11
	s_delay_alu instid0(VALU_DEP_3) | instskip(NEXT) | instid1(VALU_DEP_4)
	v_fma_f32 v12, v4, v101, -v12
	v_fma_f32 v13, v2, v170, -v13
	v_mul_f32_e32 v1, v1, v10
	v_fma_f32 v9, v6, v9, -v14
	v_dual_fmac_f32 v15, v6, v8 :: v_dual_fmac_f32 v16, v0, v10
	v_add_f32_e32 v17, v143, v12
	s_delay_alu instid0(VALU_DEP_4) | instskip(SKIP_1) | instid1(VALU_DEP_4)
	v_fma_f32 v11, v0, v11, -v1
	v_add_f32_e32 v6, v12, v13
	v_sub_f32_e32 v0, v15, v16
	v_mul_f32_e32 v8, v5, v101
	s_delay_alu instid0(VALU_DEP_4) | instskip(NEXT) | instid1(VALU_DEP_4)
	v_add_f32_e32 v5, v9, v11
	v_fma_f32 v1, -0.5, v6, v143
	v_mul_f32_e32 v10, v3, v170
	s_delay_alu instid0(VALU_DEP_3) | instskip(NEXT) | instid1(VALU_DEP_3)
	v_fma_f32 v5, -0.5, v5, v143
	v_fmamk_f32 v3, v0, 0x3f737871, v1
	v_fmac_f32_e32 v1, 0xbf737871, v0
	v_fmac_f32_e32 v8, v4, v100
	;; [unrolled: 1-line block ×3, first 2 shown]
	s_delay_alu instid0(VALU_DEP_1) | instskip(NEXT) | instid1(VALU_DEP_1)
	v_sub_f32_e32 v6, v8, v10
	v_dual_sub_f32 v2, v9, v12 :: v_dual_fmac_f32 v1, 0x3f167918, v6
	v_fmac_f32_e32 v3, 0xbf167918, v6
	v_dual_fmamk_f32 v7, v6, 0xbf737871, v5 :: v_dual_sub_f32 v4, v11, v13
	v_fmac_f32_e32 v5, 0x3f737871, v6
	s_delay_alu instid0(VALU_DEP_2) | instskip(NEXT) | instid1(VALU_DEP_3)
	v_fmac_f32_e32 v7, 0xbf167918, v0
	v_add_f32_e32 v2, v2, v4
	v_sub_f32_e32 v4, v12, v9
	s_delay_alu instid0(VALU_DEP_4) | instskip(NEXT) | instid1(VALU_DEP_3)
	v_dual_sub_f32 v14, v13, v11 :: v_dual_fmac_f32 v5, 0x3f167918, v0
	v_dual_fmac_f32 v3, 0x3e9e377a, v2 :: v_dual_add_f32 v6, v17, v9
	v_sub_f32_e32 v17, v16, v10
	v_fmac_f32_e32 v1, 0x3e9e377a, v2
	s_delay_alu instid0(VALU_DEP_4) | instskip(SKIP_3) | instid1(VALU_DEP_4)
	v_add_f32_e32 v4, v4, v14
	v_add_f32_e32 v14, v8, v10
	v_add_f32_e32 v6, v6, v11
	v_dual_sub_f32 v11, v9, v11 :: v_dual_sub_f32 v12, v12, v13
	v_fmac_f32_e32 v5, 0x3e9e377a, v4
	s_delay_alu instid0(VALU_DEP_4) | instskip(NEXT) | instid1(VALU_DEP_4)
	v_fma_f32 v0, -0.5, v14, v142
	v_dual_sub_f32 v14, v15, v8 :: v_dual_add_f32 v9, v6, v13
	v_add_f32_e32 v18, v15, v16
	v_fmac_f32_e32 v7, 0x3e9e377a, v4
	s_delay_alu instid0(VALU_DEP_3) | instskip(SKIP_1) | instid1(VALU_DEP_4)
	v_add_f32_e32 v13, v14, v17
	v_add_f32_e32 v14, v142, v8
	v_fma_f32 v4, -0.5, v18, v142
	v_dual_sub_f32 v8, v8, v15 :: v_dual_sub_f32 v17, v10, v16
	v_fmamk_f32 v2, v11, 0xbf737871, v0
	s_delay_alu instid0(VALU_DEP_4) | instskip(NEXT) | instid1(VALU_DEP_4)
	v_add_f32_e32 v14, v14, v15
	v_fmamk_f32 v6, v12, 0x3f737871, v4
	s_delay_alu instid0(VALU_DEP_4) | instskip(SKIP_1) | instid1(VALU_DEP_4)
	v_dual_fmac_f32 v4, 0xbf737871, v12 :: v_dual_add_f32 v15, v8, v17
	v_fmac_f32_e32 v0, 0x3f737871, v11
	v_add_f32_e32 v8, v14, v16
	v_lshlrev_b32_e32 v14, 3, v177
	s_delay_alu instid0(VALU_DEP_4)
	v_fmac_f32_e32 v4, 0xbf167918, v11
	v_fmac_f32_e32 v2, 0x3f167918, v12
	;; [unrolled: 1-line block ×4, first 2 shown]
	v_add_f32_e32 v8, v8, v10
	v_fmac_f32_e32 v4, 0x3e9e377a, v15
	v_add_nc_u32_e32 v10, 0x2000, v14
	v_fmac_f32_e32 v2, 0x3e9e377a, v13
	v_fmac_f32_e32 v0, 0x3e9e377a, v13
	;; [unrolled: 1-line block ×3, first 2 shown]
	ds_store_2addr_b64 v10, v[8:9], v[4:5] offset0:76 offset1:87
	ds_store_2addr_b64 v10, v[0:1], v[2:3] offset0:98 offset1:109
	ds_store_b64 v14, v[6:7] offset:9152
.LBB0_21:
	s_wait_alu 0xfffe
	s_or_b32 exec_lo, exec_lo, s1
	global_wb scope:SCOPE_SE
	s_wait_dscnt 0x0
	s_barrier_signal -1
	s_barrier_wait -1
	global_inv scope:SCOPE_SE
	ds_load_2addr_b64 v[4:7], v173 offset0:110 offset1:165
	v_add_nc_u32_e32 v3, 0x800, v173
	v_add_nc_u32_e32 v0, 0x1000, v173
	s_mov_b32 s2, 0x33a4aea8
	s_mov_b32 s3, 0x3f4c5edd
	s_wait_dscnt 0x0
	v_mul_f32_e32 v99, v53, v7
	v_mul_f32_e32 v100, v53, v6
	ds_load_2addr_b64 v[8:11], v3 offset0:74 offset1:129
	ds_load_2addr_b64 v[12:15], v3 offset0:184 offset1:239
	v_add_nc_u32_e32 v2, 0x1800, v173
	v_add_nc_u32_e32 v98, 0x1c00, v173
	ds_load_2addr_b64 v[16:19], v173 offset1:55
	ds_load_2addr_b64 v[20:23], v0 offset0:148 offset1:203
	v_fmac_f32_e32 v99, v52, v6
	v_add_nc_u32_e32 v1, 0x400, v173
	v_fma_f32 v7, v52, v7, -v100
	s_wait_dscnt 0x2
	v_dual_mul_f32 v101, v55, v8 :: v_dual_mul_f32 v102, v49, v15
	ds_load_2addr_b64 v[24:27], v2 offset0:2 offset1:57
	ds_load_b64 v[96:97], v173 offset:8800
	ds_load_2addr_b64 v[28:31], v98 offset0:94 offset1:149
	ds_load_2addr_b64 v[32:35], v1 offset0:92 offset1:147
	;; [unrolled: 1-line block ×4, first 2 shown]
	v_dual_mul_f32 v6, v55, v9 :: v_dual_mul_f32 v103, v49, v14
	v_fmac_f32_e32 v102, v48, v14
	global_wb scope:SCOPE_SE
	s_wait_dscnt 0x0
	s_barrier_signal -1
	v_fmac_f32_e32 v6, v54, v8
	v_fma_f32 v8, v54, v9, -v101
	v_fma_f32 v9, v48, v15, -v103
	v_mul_f32_e32 v15, v51, v20
	s_barrier_wait -1
	global_inv scope:SCOPE_SE
	v_fma_f32 v15, v50, v21, -v15
	v_mul_f32_e32 v101, v45, v26
	v_dual_mul_f32 v100, v45, v27 :: v_dual_mul_f32 v103, v47, v29
	v_mul_f32_e32 v14, v51, v21
	s_delay_alu instid0(VALU_DEP_2) | instskip(NEXT) | instid1(VALU_DEP_3)
	v_dual_mul_f32 v21, v47, v28 :: v_dual_fmac_f32 v100, v44, v26
	v_fmac_f32_e32 v103, v46, v28
	s_delay_alu instid0(VALU_DEP_3)
	v_fmac_f32_e32 v14, v50, v20
	v_fma_f32 v20, v44, v27, -v101
	v_mul_f32_e32 v26, v53, v33
	v_dual_mul_f32 v27, v53, v32 :: v_dual_mul_f32 v28, v55, v11
	v_mul_f32_e32 v53, v55, v10
	v_fma_f32 v21, v46, v29, -v21
	s_delay_alu instid0(VALU_DEP_3) | instskip(NEXT) | instid1(VALU_DEP_4)
	v_fma_f32 v27, v52, v33, -v27
	v_fmac_f32_e32 v28, v54, v10
	s_delay_alu instid0(VALU_DEP_4) | instskip(SKIP_4) | instid1(VALU_DEP_4)
	v_fma_f32 v29, v54, v11, -v53
	v_dual_mul_f32 v10, v49, v36 :: v_dual_mul_f32 v33, v51, v23
	v_dual_fmac_f32 v26, v52, v32 :: v_dual_mul_f32 v11, v51, v22
	v_mul_f32_e32 v32, v49, v37
	v_mul_f32_e32 v49, v45, v41
	v_fmac_f32_e32 v33, v50, v22
	s_delay_alu instid0(VALU_DEP_4) | instskip(NEXT) | instid1(VALU_DEP_4)
	v_fma_f32 v22, v50, v23, -v11
	v_dual_fmac_f32 v32, v48, v36 :: v_dual_mul_f32 v11, v47, v30
	s_delay_alu instid0(VALU_DEP_4)
	v_fmac_f32_e32 v49, v44, v40
	v_mul_f32_e32 v23, v47, v31
	v_fma_f32 v36, v48, v37, -v10
	v_mul_f32_e32 v10, v45, v40
	v_mul_f32_e32 v37, v65, v35
	;; [unrolled: 1-line block ×3, first 2 shown]
	v_fmac_f32_e32 v23, v46, v30
	v_fma_f32 v30, v46, v31, -v11
	v_fma_f32 v41, v44, v41, -v10
	v_dual_mul_f32 v10, v67, v12 :: v_dual_fmac_f32 v37, v64, v34
	v_fma_f32 v34, v64, v35, -v40
	v_dual_mul_f32 v40, v61, v39 :: v_dual_mul_f32 v35, v67, v13
	v_dual_mul_f32 v11, v61, v38 :: v_dual_mul_f32 v44, v63, v25
	s_delay_alu instid0(VALU_DEP_4) | instskip(NEXT) | instid1(VALU_DEP_3)
	v_fma_f32 v45, v66, v13, -v10
	v_dual_fmac_f32 v40, v60, v38 :: v_dual_fmac_f32 v35, v66, v12
	v_mul_f32_e32 v46, v59, v97
	s_delay_alu instid0(VALU_DEP_4) | instskip(SKIP_3) | instid1(VALU_DEP_3)
	v_fma_f32 v38, v60, v39, -v11
	v_dual_fmac_f32 v44, v62, v24 :: v_dual_mul_f32 v39, v57, v43
	v_dual_mul_f32 v10, v63, v24 :: v_dual_mul_f32 v11, v57, v42
	v_mul_f32_e32 v12, v59, v96
	v_dual_fmac_f32 v46, v58, v96 :: v_dual_fmac_f32 v39, v56, v42
	s_delay_alu instid0(VALU_DEP_3) | instskip(NEXT) | instid1(VALU_DEP_4)
	v_fma_f32 v47, v62, v25, -v10
	v_fma_f32 v42, v56, v43, -v11
	v_add_f32_e32 v11, v7, v21
	v_fma_f32 v43, v58, v97, -v12
	v_dual_add_f32 v10, v99, v103 :: v_dual_add_f32 v13, v6, v100
	v_sub_f32_e32 v12, v99, v103
	v_dual_sub_f32 v7, v7, v21 :: v_dual_sub_f32 v6, v6, v100
	v_add_f32_e32 v21, v8, v20
	v_sub_f32_e32 v8, v8, v20
	v_add_f32_e32 v20, v102, v14
	s_delay_alu instid0(VALU_DEP_4) | instskip(NEXT) | instid1(VALU_DEP_4)
	v_dual_sub_f32 v31, v13, v10 :: v_dual_sub_f32 v54, v6, v12
	v_add_f32_e32 v25, v21, v11
	v_dual_add_f32 v24, v9, v15 :: v_dual_sub_f32 v9, v15, v9
	s_delay_alu instid0(VALU_DEP_4) | instskip(SKIP_1) | instid1(VALU_DEP_3)
	v_dual_add_f32 v15, v13, v10 :: v_dual_sub_f32 v10, v10, v20
	v_dual_sub_f32 v13, v20, v13 :: v_dual_sub_f32 v14, v14, v102
	v_dual_sub_f32 v48, v21, v11 :: v_dual_sub_f32 v21, v24, v21
	v_sub_f32_e32 v11, v11, v24
	s_delay_alu instid0(VALU_DEP_3) | instskip(SKIP_1) | instid1(VALU_DEP_3)
	v_dual_add_f32 v51, v9, v8 :: v_dual_add_f32 v50, v14, v6
	v_add_f32_e32 v15, v20, v15
	v_dual_add_f32 v20, v24, v25 :: v_dual_mul_f32 v11, 0x3f4a47b2, v11
	v_dual_sub_f32 v52, v14, v6 :: v_dual_sub_f32 v53, v9, v8
	v_dual_sub_f32 v14, v12, v14 :: v_dual_sub_f32 v9, v7, v9
	v_sub_f32_e32 v8, v8, v7
	v_add_f32_e32 v12, v50, v12
	v_add_f32_e32 v24, v51, v7
	v_dual_add_f32 v6, v16, v15 :: v_dual_mul_f32 v25, 0x3f08b237, v52
	v_add_f32_e32 v7, v17, v20
	v_mul_f32_e32 v17, 0x3d64c772, v21
	v_dual_mul_f32 v51, 0xbf5ff5aa, v54 :: v_dual_mul_f32 v52, 0xbf5ff5aa, v8
	s_delay_alu instid0(VALU_DEP_3)
	v_dual_fmamk_f32 v15, v15, 0xbf955555, v6 :: v_dual_fmamk_f32 v20, v20, 0xbf955555, v7
	v_mul_f32_e32 v10, 0x3f4a47b2, v10
	v_mul_f32_e32 v16, 0x3d64c772, v13
	v_fma_f32 v17, 0x3f3bfb3b, v48, -v17
	v_fma_f32 v51, 0x3eae86e6, v14, -v51
	;; [unrolled: 1-line block ×3, first 2 shown]
	v_fmamk_f32 v13, v13, 0x3d64c772, v10
	v_fma_f32 v16, 0x3f3bfb3b, v31, -v16
	v_fmamk_f32 v21, v21, 0x3d64c772, v11
	v_mul_f32_e32 v50, 0x3f08b237, v53
	v_fma_f32 v11, 0xbf3bfb3b, v48, -v11
	v_add_f32_e32 v53, v13, v15
	v_fma_f32 v10, 0xbf3bfb3b, v31, -v10
	v_dual_fmamk_f32 v31, v14, 0xbeae86e6, v25 :: v_dual_add_f32 v14, v16, v15
	v_add_f32_e32 v21, v21, v20
	v_fmamk_f32 v48, v9, 0xbeae86e6, v50
	v_fma_f32 v50, 0xbf5ff5aa, v8, -v50
	v_fma_f32 v25, 0xbf5ff5aa, v54, -v25
	v_dual_add_f32 v16, v17, v20 :: v_dual_add_f32 v17, v10, v15
	v_fmac_f32_e32 v52, 0xbee1c552, v24
	s_delay_alu instid0(VALU_DEP_4)
	v_fmac_f32_e32 v50, 0xbee1c552, v24
	v_fmac_f32_e32 v51, 0xbee1c552, v12
	;; [unrolled: 1-line block ×4, first 2 shown]
	v_dual_fmac_f32 v25, 0xbee1c552, v12 :: v_dual_add_f32 v10, v52, v17
	v_add_f32_e32 v24, v26, v23
	s_delay_alu instid0(VALU_DEP_4) | instskip(NEXT) | instid1(VALU_DEP_4)
	v_add_f32_e32 v8, v48, v53
	v_dual_add_f32 v20, v11, v20 :: v_dual_sub_f32 v9, v21, v31
	s_delay_alu instid0(VALU_DEP_4) | instskip(SKIP_1) | instid1(VALU_DEP_3)
	v_sub_f32_e32 v15, v16, v25
	v_dual_add_f32 v21, v31, v21 :: v_dual_sub_f32 v12, v14, v50
	v_sub_f32_e32 v11, v20, v51
	v_dual_add_f32 v13, v25, v16 :: v_dual_add_f32 v14, v50, v14
	v_dual_sub_f32 v16, v17, v52 :: v_dual_add_f32 v25, v27, v30
	v_add_f32_e32 v17, v51, v20
	v_dual_sub_f32 v20, v53, v48 :: v_dual_sub_f32 v23, v26, v23
	v_dual_sub_f32 v26, v27, v30 :: v_dual_add_f32 v27, v28, v49
	v_add_f32_e32 v30, v29, v41
	v_sub_f32_e32 v28, v28, v49
	v_sub_f32_e32 v29, v29, v41
	v_dual_add_f32 v31, v32, v33 :: v_dual_sub_f32 v32, v33, v32
	v_dual_add_f32 v41, v36, v22 :: v_dual_sub_f32 v22, v22, v36
	v_dual_add_f32 v33, v27, v24 :: v_dual_add_f32 v36, v30, v25
	v_dual_sub_f32 v48, v27, v24 :: v_dual_sub_f32 v49, v30, v25
	s_delay_alu instid0(VALU_DEP_3)
	v_dual_sub_f32 v24, v24, v31 :: v_dual_sub_f32 v25, v25, v41
	v_dual_sub_f32 v27, v31, v27 :: v_dual_sub_f32 v30, v41, v30
	v_dual_add_f32 v51, v22, v29 :: v_dual_add_f32 v50, v32, v28
	v_dual_sub_f32 v53, v22, v29 :: v_dual_sub_f32 v52, v32, v28
	v_dual_add_f32 v31, v31, v33 :: v_dual_sub_f32 v22, v26, v22
	v_add_f32_e32 v33, v41, v36
	v_dual_sub_f32 v32, v23, v32 :: v_dual_sub_f32 v29, v29, v26
	v_sub_f32_e32 v28, v28, v23
	v_dual_add_f32 v23, v50, v23 :: v_dual_add_f32 v26, v51, v26
	v_dual_add_f32 v18, v18, v31 :: v_dual_mul_f32 v25, 0x3f4a47b2, v25
	v_dual_add_f32 v19, v19, v33 :: v_dual_mul_f32 v36, 0x3d64c772, v27
	v_mul_f32_e32 v41, 0x3d64c772, v30
	v_dual_mul_f32 v50, 0x3f08b237, v52 :: v_dual_mul_f32 v51, 0x3f08b237, v53
	v_dual_mul_f32 v52, 0xbf5ff5aa, v28 :: v_dual_mul_f32 v53, 0xbf5ff5aa, v29
	s_delay_alu instid0(VALU_DEP_4)
	v_fmamk_f32 v33, v33, 0xbf955555, v19
	v_fma_f32 v36, 0x3f3bfb3b, v48, -v36
	v_fma_f32 v41, 0x3f3bfb3b, v49, -v41
	v_fmamk_f32 v31, v31, 0xbf955555, v18
	v_fmamk_f32 v30, v30, 0x3d64c772, v25
	v_mul_f32_e32 v24, 0x3f4a47b2, v24
	v_fma_f32 v25, 0xbf3bfb3b, v49, -v25
	v_fmamk_f32 v49, v22, 0xbeae86e6, v51
	ds_store_2addr_b64 v173, v[6:7], v[8:9] offset1:55
	ds_store_2addr_b64 v173, v[10:11], v[12:13] offset0:110 offset1:165
	ds_store_2addr_b64 v1, v[14:15], v[16:17] offset0:92 offset1:147
	;; [unrolled: 1-line block ×3, first 2 shown]
	v_add_nc_u32_e32 v6, 0x1800, v178
	v_add_nc_u32_e32 v7, 0x1c00, v178
	v_fmac_f32_e32 v49, 0xbee1c552, v26
	v_fmamk_f32 v27, v27, 0x3d64c772, v24
	v_fma_f32 v24, 0xbf3bfb3b, v48, -v24
	v_fmamk_f32 v48, v32, 0xbeae86e6, v50
	v_fma_f32 v50, 0xbf5ff5aa, v28, -v50
	v_fma_f32 v28, 0xbf5ff5aa, v29, -v51
	;; [unrolled: 1-line block ×4, first 2 shown]
	v_add_f32_e32 v53, v30, v33
	v_add_f32_e32 v30, v41, v33
	v_dual_add_f32 v52, v27, v31 :: v_dual_add_f32 v33, v25, v33
	v_add_f32_e32 v29, v36, v31
	v_dual_add_f32 v31, v24, v31 :: v_dual_fmac_f32 v28, 0xbee1c552, v26
	v_dual_fmac_f32 v48, 0xbee1c552, v23 :: v_dual_fmac_f32 v51, 0xbee1c552, v26
	v_fmac_f32_e32 v50, 0xbee1c552, v23
	v_fmac_f32_e32 v32, 0xbee1c552, v23
	s_delay_alu instid0(VALU_DEP_4) | instskip(NEXT) | instid1(VALU_DEP_4)
	v_sub_f32_e32 v26, v29, v28
	v_dual_sub_f32 v23, v53, v48 :: v_dual_add_f32 v24, v51, v31
	s_delay_alu instid0(VALU_DEP_4) | instskip(NEXT) | instid1(VALU_DEP_4)
	v_add_f32_e32 v27, v50, v30
	v_dual_sub_f32 v25, v33, v32 :: v_dual_add_f32 v28, v28, v29
	v_dual_sub_f32 v29, v30, v50 :: v_dual_sub_f32 v30, v31, v51
	v_dual_add_f32 v31, v32, v33 :: v_dual_add_f32 v36, v37, v46
	v_dual_sub_f32 v32, v52, v49 :: v_dual_add_f32 v41, v34, v43
	v_dual_add_f32 v33, v48, v53 :: v_dual_sub_f32 v34, v34, v43
	v_sub_f32_e32 v37, v37, v46
	v_dual_add_f32 v43, v35, v39 :: v_dual_add_f32 v46, v45, v42
	v_sub_f32_e32 v35, v35, v39
	v_dual_sub_f32 v39, v45, v42 :: v_dual_add_f32 v42, v40, v44
	v_dual_add_f32 v45, v38, v47 :: v_dual_sub_f32 v38, v47, v38
	v_sub_f32_e32 v40, v44, v40
	v_dual_add_f32 v44, v43, v36 :: v_dual_add_f32 v47, v46, v41
	v_sub_f32_e32 v48, v43, v36
	v_dual_add_f32 v22, v49, v52 :: v_dual_sub_f32 v49, v46, v41
	v_dual_sub_f32 v36, v36, v42 :: v_dual_sub_f32 v41, v41, v45
	v_add_f32_e32 v50, v40, v35
	v_dual_sub_f32 v43, v42, v43 :: v_dual_sub_f32 v46, v45, v46
	v_dual_sub_f32 v52, v40, v35 :: v_dual_sub_f32 v35, v35, v37
	v_add_f32_e32 v42, v42, v44
	v_add_f32_e32 v44, v45, v47
	v_dual_add_f32 v51, v38, v39 :: v_dual_sub_f32 v40, v37, v40
	v_sub_f32_e32 v53, v38, v39
	v_sub_f32_e32 v39, v39, v34
	v_add_f32_e32 v37, v50, v37
	v_dual_sub_f32 v38, v34, v38 :: v_dual_add_f32 v5, v5, v44
	v_dual_add_f32 v4, v4, v42 :: v_dual_mul_f32 v41, 0x3f4a47b2, v41
	v_mul_f32_e32 v36, 0x3f4a47b2, v36
	v_mul_f32_e32 v45, 0x3d64c772, v43
	;; [unrolled: 1-line block ×3, first 2 shown]
	v_dual_add_f32 v34, v51, v34 :: v_dual_mul_f32 v51, 0x3f08b237, v53
	v_fmamk_f32 v42, v42, 0xbf955555, v4
	v_fmamk_f32 v44, v44, 0xbf955555, v5
	v_dual_mul_f32 v47, 0x3d64c772, v46 :: v_dual_fmamk_f32 v46, v46, 0x3d64c772, v41
	v_fma_f32 v45, 0x3f3bfb3b, v48, -v45
	v_fmamk_f32 v43, v43, 0x3d64c772, v36
	v_mul_f32_e32 v53, 0xbf5ff5aa, v39
	v_fma_f32 v36, 0xbf3bfb3b, v48, -v36
	v_fmamk_f32 v48, v40, 0xbeae86e6, v50
	v_fma_f32 v41, 0xbf3bfb3b, v49, -v41
	v_add_f32_e32 v54, v43, v42
	v_fma_f32 v53, 0x3eae86e6, v38, -v53
	v_add_f32_e32 v46, v46, v44
	v_fma_f32 v47, 0x3f3bfb3b, v49, -v47
	v_fmamk_f32 v49, v38, 0xbeae86e6, v51
	v_mul_f32_e32 v52, 0xbf5ff5aa, v35
	v_dual_fmac_f32 v48, 0xbee1c552, v37 :: v_dual_fmac_f32 v53, 0xbee1c552, v34
	v_fma_f32 v50, 0xbf5ff5aa, v35, -v50
	v_fma_f32 v51, 0xbf5ff5aa, v39, -v51
	v_fmac_f32_e32 v49, 0xbee1c552, v34
	s_delay_alu instid0(VALU_DEP_4)
	v_sub_f32_e32 v35, v46, v48
	v_add_f32_e32 v43, v47, v44
	v_fma_f32 v52, 0x3eae86e6, v40, -v52
	v_add_f32_e32 v44, v41, v44
	v_dual_fmac_f32 v50, 0xbee1c552, v37 :: v_dual_fmac_f32 v51, 0xbee1c552, v34
	ds_store_2addr_b64 v3, v[22:23], v[24:25] offset0:184 offset1:239
	v_fmac_f32_e32 v52, 0xbee1c552, v37
	v_add_f32_e32 v34, v49, v54
	v_sub_f32_e32 v41, v43, v50
	v_add_f32_e32 v39, v50, v43
	s_delay_alu instid0(VALU_DEP_4) | instskip(SKIP_3) | instid1(VALU_DEP_3)
	v_add_f32_e32 v43, v52, v44
	v_dual_sub_f32 v37, v44, v52 :: v_dual_add_f32 v40, v45, v42
	v_add_f32_e32 v42, v36, v42
	v_dual_sub_f32 v44, v54, v49 :: v_dual_add_f32 v45, v48, v46
	v_sub_f32_e32 v38, v40, v51
	s_delay_alu instid0(VALU_DEP_3)
	v_add_f32_e32 v36, v53, v42
	v_add_f32_e32 v40, v51, v40
	v_sub_f32_e32 v42, v42, v53
	ds_store_2addr_b64 v0, v[26:27], v[28:29] offset0:38 offset1:93
	ds_store_2addr_b64 v0, v[30:31], v[32:33] offset0:148 offset1:203
	;; [unrolled: 1-line block ×5, first 2 shown]
	ds_store_b64 v178, v[44:45] offset:8800
	global_wb scope:SCOPE_SE
	s_wait_dscnt 0x0
	s_barrier_signal -1
	s_barrier_wait -1
	global_inv scope:SCOPE_SE
	ds_load_2addr_b64 v[5:8], v3 offset0:74 offset1:129
	ds_load_2addr_b64 v[9:12], v2 offset0:2 offset1:57
	;; [unrolled: 1-line block ×3, first 2 shown]
	ds_load_2addr_b64 v[17:20], v173 offset1:55
	ds_load_2addr_b64 v[21:24], v173 offset0:110 offset1:165
	ds_load_2addr_b64 v[25:28], v2 offset0:112 offset1:167
	;; [unrolled: 1-line block ×6, first 2 shown]
	ds_load_b64 v[45:46], v173 offset:8800
	s_wait_dscnt 0xa
	v_mul_f32_e32 v47, v93, v7
	v_mul_f32_e32 v4, v93, v8
	s_wait_dscnt 0x9
	v_mul_f32_e32 v49, v91, v12
	v_mul_f32_e32 v48, v95, v10
	s_wait_dscnt 0x8
	v_mul_f32_e32 v50, v85, v16
	v_fma_f32 v8, v92, v8, -v47
	v_mul_f32_e32 v47, v89, v14
	v_fmac_f32_e32 v49, v90, v11
	v_fmac_f32_e32 v48, v94, v9
	s_wait_dscnt 0x5
	v_mul_f32_e32 v52, v87, v26
	s_wait_dscnt 0x4
	v_dual_mul_f32 v54, v73, v30 :: v_dual_mul_f32 v55, v75, v28
	v_fmac_f32_e32 v47, v88, v13
	v_dual_fmac_f32 v4, v92, v7 :: v_dual_mul_f32 v7, v95, v9
	v_mul_f32_e32 v9, v89, v13
	s_wait_dscnt 0x2
	v_dual_mul_f32 v56, v81, v32 :: v_dual_mul_f32 v57, v83, v38
	v_fmac_f32_e32 v52, v86, v25
	v_fma_f32 v10, v94, v10, -v7
	v_mul_f32_e32 v7, v91, v11
	v_fma_f32 v14, v88, v14, -v9
	v_dual_mul_f32 v9, v85, v15 :: v_dual_fmac_f32 v54, v72, v29
	v_fmac_f32_e32 v55, v74, v27
	s_delay_alu instid0(VALU_DEP_4) | instskip(SKIP_1) | instid1(VALU_DEP_4)
	v_fma_f32 v51, v90, v12, -v7
	v_mul_f32_e32 v7, v87, v25
	v_fma_f32 v53, v84, v16, -v9
	v_dual_mul_f32 v9, v73, v29 :: v_dual_fmac_f32 v56, v80, v31
	s_wait_dscnt 0x1
	v_dual_mul_f32 v58, v77, v42 :: v_dual_fmac_f32 v57, v82, v37
	v_fma_f32 v26, v86, v26, -v7
	v_mul_f32_e32 v7, v75, v27
	v_fmac_f32_e32 v50, v84, v15
	v_fma_f32 v29, v72, v30, -v9
	v_mul_f32_e32 v9, v81, v31
	v_dual_mul_f32 v59, v79, v40 :: v_dual_fmac_f32 v58, v76, v41
	v_fma_f32 v28, v74, v28, -v7
	v_mul_f32_e32 v7, v83, v37
	s_delay_alu instid0(VALU_DEP_4)
	v_fma_f32 v32, v80, v32, -v9
	v_mul_f32_e32 v60, v69, v44
	v_mul_f32_e32 v9, v77, v41
	v_dual_fmac_f32 v59, v78, v39 :: v_dual_add_f32 v12, v8, v10
	v_fma_f32 v38, v82, v38, -v7
	v_mul_f32_e32 v7, v79, v39
	v_fmac_f32_e32 v60, v68, v43
	v_fma_f32 v41, v76, v42, -v9
	v_mul_f32_e32 v9, v69, v43
	v_add_f32_e32 v11, v17, v4
	v_dual_sub_f32 v13, v8, v10 :: v_dual_sub_f32 v16, v14, v51
	v_add_f32_e32 v15, v18, v8
	s_delay_alu instid0(VALU_DEP_4)
	v_fma_f32 v43, v68, v44, -v9
	v_add_f32_e32 v9, v4, v48
	v_fma_f32 v8, -0.5, v12, v18
	v_sub_f32_e32 v4, v4, v48
	v_fma_f32 v40, v78, v40, -v7
	s_wait_dscnt 0x0
	v_mul_f32_e32 v61, v71, v46
	v_dual_mul_f32 v7, v71, v45 :: v_dual_add_f32 v18, v21, v50
	v_fmamk_f32 v12, v4, 0x3f5db3d7, v8
	v_fmac_f32_e32 v8, 0xbf5db3d7, v4
	v_add_f32_e32 v4, v14, v51
	v_dual_fmac_f32 v61, v70, v45 :: v_dual_add_f32 v14, v20, v14
	v_fma_f32 v44, v70, v46, -v7
	v_add_f32_e32 v30, v22, v53
	s_delay_alu instid0(VALU_DEP_4)
	v_fmac_f32_e32 v20, -0.5, v4
	v_sub_f32_e32 v4, v47, v49
	v_add_f32_e32 v10, v15, v10
	v_fma_f32 v7, -0.5, v9, v17
	v_dual_add_f32 v9, v11, v48 :: v_dual_add_f32 v14, v14, v51
	v_add_f32_e32 v15, v19, v47
	v_add_f32_e32 v17, v50, v52
	s_delay_alu instid0(VALU_DEP_4)
	v_fmamk_f32 v11, v13, 0xbf5db3d7, v7
	v_fmac_f32_e32 v7, 0x3f5db3d7, v13
	v_add_f32_e32 v13, v47, v49
	v_sub_f32_e32 v31, v29, v28
	v_fma_f32 v17, -0.5, v17, v21
	v_add_f32_e32 v21, v18, v52
	v_add_f32_e32 v37, v33, v56
	v_fma_f32 v19, -0.5, v13, v19
	v_add_f32_e32 v13, v15, v49
	v_dual_sub_f32 v39, v32, v38 :: v_dual_add_f32 v42, v34, v32
	v_sub_f32_e32 v45, v41, v40
	s_delay_alu instid0(VALU_DEP_4)
	v_fmamk_f32 v15, v16, 0xbf5db3d7, v19
	v_dual_fmac_f32 v19, 0x3f5db3d7, v16 :: v_dual_fmamk_f32 v16, v4, 0x3f5db3d7, v20
	v_fmac_f32_e32 v20, 0xbf5db3d7, v4
	v_add_f32_e32 v4, v53, v26
	v_add_f32_e32 v46, v5, v60
	v_dual_sub_f32 v47, v43, v44 :: v_dual_add_f32 v48, v6, v43
	s_delay_alu instid0(VALU_DEP_3) | instskip(SKIP_3) | instid1(VALU_DEP_3)
	v_fma_f32 v18, -0.5, v4, v22
	v_dual_sub_f32 v4, v50, v52 :: v_dual_sub_f32 v27, v53, v26
	v_add_f32_e32 v22, v30, v26
	v_add_f32_e32 v30, v23, v54
	v_fmamk_f32 v26, v4, 0x3f5db3d7, v18
	s_delay_alu instid0(VALU_DEP_4) | instskip(SKIP_2) | instid1(VALU_DEP_1)
	v_dual_fmac_f32 v18, 0xbf5db3d7, v4 :: v_dual_fmamk_f32 v25, v27, 0xbf5db3d7, v17
	v_dual_add_f32 v4, v29, v28 :: v_dual_fmac_f32 v17, 0x3f5db3d7, v27
	v_add_f32_e32 v27, v54, v55
	v_fma_f32 v23, -0.5, v27, v23
	v_dual_add_f32 v27, v30, v55 :: v_dual_add_f32 v30, v24, v29
	s_delay_alu instid0(VALU_DEP_4) | instskip(NEXT) | instid1(VALU_DEP_3)
	v_fmac_f32_e32 v24, -0.5, v4
	v_dual_sub_f32 v4, v54, v55 :: v_dual_fmamk_f32 v29, v31, 0xbf5db3d7, v23
	s_delay_alu instid0(VALU_DEP_3) | instskip(SKIP_1) | instid1(VALU_DEP_3)
	v_dual_fmac_f32 v23, 0x3f5db3d7, v31 :: v_dual_add_f32 v28, v30, v28
	v_add_f32_e32 v31, v56, v57
	v_fmamk_f32 v30, v4, 0x3f5db3d7, v24
	v_fmac_f32_e32 v24, 0xbf5db3d7, v4
	v_add_f32_e32 v4, v32, v38
	s_delay_alu instid0(VALU_DEP_4) | instskip(SKIP_1) | instid1(VALU_DEP_3)
	v_fma_f32 v31, -0.5, v31, v33
	v_add_f32_e32 v33, v37, v57
	v_fma_f32 v32, -0.5, v4, v34
	v_add_f32_e32 v34, v42, v38
	s_delay_alu instid0(VALU_DEP_4) | instskip(SKIP_2) | instid1(VALU_DEP_3)
	v_dual_sub_f32 v4, v56, v57 :: v_dual_fmamk_f32 v37, v39, 0xbf5db3d7, v31
	v_fmac_f32_e32 v31, 0x3f5db3d7, v39
	v_dual_add_f32 v39, v58, v59 :: v_dual_add_f32 v42, v35, v58
	v_fmamk_f32 v38, v4, 0x3f5db3d7, v32
	v_fmac_f32_e32 v32, 0xbf5db3d7, v4
	s_delay_alu instid0(VALU_DEP_3) | instskip(NEXT) | instid1(VALU_DEP_4)
	v_fma_f32 v35, -0.5, v39, v35
	v_dual_add_f32 v39, v42, v59 :: v_dual_add_f32 v42, v36, v41
	v_add_f32_e32 v4, v41, v40
	s_delay_alu instid0(VALU_DEP_3) | instskip(NEXT) | instid1(VALU_DEP_3)
	v_fmamk_f32 v41, v45, 0xbf5db3d7, v35
	v_dual_fmac_f32 v35, 0x3f5db3d7, v45 :: v_dual_add_f32 v40, v42, v40
	s_delay_alu instid0(VALU_DEP_3) | instskip(SKIP_1) | instid1(VALU_DEP_2)
	v_dual_fmac_f32 v36, -0.5, v4 :: v_dual_add_f32 v45, v60, v61
	v_sub_f32_e32 v4, v58, v59
	v_fma_f32 v5, -0.5, v45, v5
	s_delay_alu instid0(VALU_DEP_2) | instskip(SKIP_2) | instid1(VALU_DEP_4)
	v_fmamk_f32 v42, v4, 0x3f5db3d7, v36
	v_fmac_f32_e32 v36, 0xbf5db3d7, v4
	v_dual_add_f32 v4, v43, v44 :: v_dual_add_f32 v43, v46, v61
	v_fmamk_f32 v45, v47, 0xbf5db3d7, v5
	v_dual_fmac_f32 v5, 0x3f5db3d7, v47 :: v_dual_add_f32 v44, v48, v44
	s_delay_alu instid0(VALU_DEP_3) | instskip(SKIP_1) | instid1(VALU_DEP_1)
	v_fmac_f32_e32 v6, -0.5, v4
	v_sub_f32_e32 v4, v60, v61
	v_fmamk_f32 v46, v4, 0x3f5db3d7, v6
	v_fmac_f32_e32 v6, 0xbf5db3d7, v4
	v_add_nc_u32_e32 v4, 0xc00, v173
	ds_store_2addr_b64 v173, v[9:10], v[13:14] offset1:55
	ds_store_2addr_b64 v3, v[11:12], v[15:16] offset0:129 offset1:184
	ds_store_2addr_b64 v2, v[7:8], v[19:20] offset0:2 offset1:57
	;; [unrolled: 1-line block ×5, first 2 shown]
	ds_store_b64 v173, v[31:32] offset:7920
	v_add_nc_u32_e32 v7, 0x2000, v173
	ds_store_2addr_b64 v1, v[33:34], v[39:40] offset0:92 offset1:147
	ds_store_2addr_b64 v0, v[37:38], v[41:42] offset0:93 offset1:148
	ds_store_b64 v173, v[43:44] offset:2640
	ds_store_b64 v173, v[45:46] offset:5720
	ds_store_2addr_b64 v7, v[35:36], v[5:6] offset0:21 offset1:76
	global_wb scope:SCOPE_SE
	s_wait_dscnt 0x0
	s_barrier_signal -1
	s_barrier_wait -1
	global_inv scope:SCOPE_SE
	ds_load_2addr_b64 v[5:8], v173 offset1:105
	v_mad_co_u64_u32 v[21:22], null, s6, v146, 0
	v_mad_co_u64_u32 v[27:28], null, s4, v174, 0
	s_wait_dscnt 0x0
	v_mul_f32_e32 v9, v168, v6
	v_mul_f32_e32 v10, v168, v5
	s_delay_alu instid0(VALU_DEP_2) | instskip(NEXT) | instid1(VALU_DEP_2)
	v_fmac_f32_e32 v9, v167, v5
	v_fma_f32 v10, v167, v6, -v10
	s_delay_alu instid0(VALU_DEP_2) | instskip(NEXT) | instid1(VALU_DEP_2)
	v_cvt_f64_f32_e32 v[5:6], v9
	v_cvt_f64_f32_e32 v[13:14], v10
	ds_load_2addr_b64 v[9:12], v1 offset0:82 offset1:187
	v_mov_b32_e32 v1, v22
	s_wait_dscnt 0x0
	v_mul_f32_e32 v17, v166, v10
	s_delay_alu instid0(VALU_DEP_1) | instskip(NEXT) | instid1(VALU_DEP_1)
	v_fmac_f32_e32 v17, v165, v9
	v_cvt_f64_f32_e32 v[31:32], v17
	s_wait_alu 0xfffe
	v_mul_f64_e32 v[23:24], s[2:3], v[5:6]
	v_mul_f32_e32 v5, v164, v8
	v_mul_f32_e32 v6, v164, v7
	v_mul_f64_e32 v[25:26], s[2:3], v[13:14]
	ds_load_2addr_b64 v[13:16], v4 offset0:36 offset1:141
	v_dual_mul_f32 v18, v150, v12 :: v_dual_fmac_f32 v5, v163, v7
	v_mul_f32_e32 v7, v166, v9
	v_fma_f32 v6, v163, v8, -v6
	s_delay_alu instid0(VALU_DEP_3) | instskip(NEXT) | instid1(VALU_DEP_3)
	v_cvt_f64_f32_e32 v[29:30], v5
	v_fma_f32 v19, v165, v10, -v7
	s_delay_alu instid0(VALU_DEP_3)
	v_cvt_f64_f32_e32 v[9:10], v6
	ds_load_2addr_b64 v[5:8], v0 offset0:118 offset1:223
	v_fmac_f32_e32 v18, v149, v11
	v_cvt_f64_f32_e32 v[33:34], v19
	s_wait_dscnt 0x1
	v_dual_mul_f32 v37, v158, v16 :: v_dual_mul_f32 v22, v156, v14
	v_mul_f32_e32 v38, v158, v15
	s_delay_alu instid0(VALU_DEP_2)
	v_fmac_f32_e32 v37, v157, v15
	s_wait_dscnt 0x0
	v_mul_f32_e32 v43, v152, v8
	v_cvt_f64_f32_e32 v[35:36], v18
	ds_load_2addr_b64 v[17:20], v2 offset0:72 offset1:177
	v_fmac_f32_e32 v22, v155, v13
	v_mul_f32_e32 v44, v152, v7
	v_fmac_f32_e32 v43, v151, v7
	s_delay_alu instid0(VALU_DEP_2) | instskip(NEXT) | instid1(VALU_DEP_2)
	v_fma_f32 v45, v151, v8, -v44
	v_cvt_f64_f32_e32 v[43:44], v43
	s_delay_alu instid0(VALU_DEP_2)
	v_cvt_f64_f32_e32 v[45:46], v45
	v_mul_f64_e32 v[29:30], s[2:3], v[29:30]
	v_mul_f64_e32 v[9:10], s[2:3], v[9:10]
	s_wait_dscnt 0x0
	v_mul_f32_e32 v47, v154, v18
	v_dual_mul_f32 v0, v150, v11 :: v_dual_mul_f32 v11, v156, v13
	s_delay_alu instid0(VALU_DEP_2) | instskip(NEXT) | instid1(VALU_DEP_2)
	v_fmac_f32_e32 v47, v153, v17
	v_fma_f32 v0, v149, v12, -v0
	s_delay_alu instid0(VALU_DEP_3) | instskip(SKIP_1) | instid1(VALU_DEP_4)
	v_fma_f32 v39, v155, v14, -v11
	v_cvt_f64_f32_e32 v[13:14], v22
	v_cvt_f64_f32_e32 v[47:48], v47
	s_delay_alu instid0(VALU_DEP_4)
	v_cvt_f64_f32_e32 v[11:12], v0
	v_fma_f32 v0, v157, v16, -v38
	v_cvt_f64_f32_e32 v[15:16], v39
	ds_load_b64 v[39:40], v173 offset:8400
	v_mul_f32_e32 v22, v148, v5
	v_cvt_f64_f32_e32 v[37:38], v37
	v_cvt_f64_f32_e32 v[41:42], v0
	v_mul_f32_e32 v0, v148, v6
	s_delay_alu instid0(VALU_DEP_1)
	v_fmac_f32_e32 v0, v147, v5
	v_cvt_f32_f64_e32 v29, v[29:30]
	v_cvt_f32_f64_e32 v30, v[9:10]
	s_wait_dscnt 0x0
	v_mul_f32_e32 v49, v162, v40
	v_fma_f32 v22, v147, v6, -v22
	v_cvt_f64_f32_e32 v[5:6], v0
	v_dual_mul_f32 v0, v154, v17 :: v_dual_mul_f32 v17, v160, v19
	s_delay_alu instid0(VALU_DEP_4) | instskip(NEXT) | instid1(VALU_DEP_4)
	v_fmac_f32_e32 v49, v161, v39
	v_cvt_f64_f32_e32 v[7:8], v22
	v_mul_f32_e32 v22, v160, v20
	v_mul_f32_e32 v50, v162, v39
	v_fma_f32 v0, v153, v18, -v0
	v_fma_f32 v51, v159, v20, -v17
	s_delay_alu instid0(VALU_DEP_4) | instskip(NEXT) | instid1(VALU_DEP_4)
	v_fmac_f32_e32 v22, v159, v19
	v_fma_f32 v52, v161, v40, -v50
	s_delay_alu instid0(VALU_DEP_4) | instskip(NEXT) | instid1(VALU_DEP_4)
	v_cvt_f64_f32_e32 v[17:18], v0
	v_cvt_f64_f32_e32 v[39:40], v51
	;; [unrolled: 1-line block ×5, first 2 shown]
	v_mad_co_u64_u32 v[0:1], null, s7, v146, v[1:2]
	v_mov_b32_e32 v1, v28
	v_mul_f64_e32 v[11:12], s[2:3], v[11:12]
	v_mul_f64_e32 v[13:14], s[2:3], v[13:14]
	;; [unrolled: 1-line block ×3, first 2 shown]
	s_delay_alu instid0(VALU_DEP_4)
	v_mad_co_u64_u32 v[53:54], null, s5, v174, v[1:2]
	v_mov_b32_e32 v22, v0
	v_cvt_f32_f64_e32 v0, v[23:24]
	v_cvt_f32_f64_e32 v1, v[25:26]
	v_mul_f64_e32 v[23:24], s[2:3], v[31:32]
	v_mul_f64_e32 v[25:26], s[2:3], v[33:34]
	;; [unrolled: 1-line block ×3, first 2 shown]
	v_lshlrev_b64_e32 v[21:22], 3, v[21:22]
	v_mov_b32_e32 v28, v53
	v_mul_f64_e32 v[33:34], s[2:3], v[41:42]
	v_mul_f64_e32 v[35:36], s[2:3], v[43:44]
	;; [unrolled: 1-line block ×3, first 2 shown]
	v_add_co_u32 v53, s0, s10, v21
	s_wait_alu 0xf1ff
	v_add_co_ci_u32_e64 v54, s0, s11, v22, s0
	v_lshlrev_b64_e32 v[21:22], 3, v[27:28]
	v_mul_f64_e32 v[27:28], s[2:3], v[37:38]
	v_mul_f64_e32 v[5:6], s[2:3], v[5:6]
	;; [unrolled: 1-line block ×4, first 2 shown]
	v_add_co_u32 v21, s0, v53, v21
	v_mul_f64_e32 v[17:18], s[2:3], v[17:18]
	v_mul_f64_e32 v[39:40], s[2:3], v[39:40]
	;; [unrolled: 1-line block ×5, first 2 shown]
	s_wait_alu 0xf1ff
	v_add_co_ci_u32_e64 v22, s0, v54, v22, s0
	s_mul_u64 s[0:1], s[4:5], 0x69
	s_wait_alu 0xfffe
	s_lshl_b64 s[6:7], s[0:1], 3
	s_wait_alu 0xfffe
	v_add_co_u32 v9, s0, v21, s6
	s_wait_alu 0xf1ff
	v_add_co_ci_u32_e64 v10, s0, s7, v22, s0
	global_store_b64 v[21:22], v[0:1], off
	v_cvt_f32_f64_e32 v23, v[23:24]
	v_cvt_f32_f64_e32 v24, v[25:26]
	;; [unrolled: 1-line block ×6, first 2 shown]
	v_add_co_u32 v25, s0, v9, s6
	s_wait_alu 0xf1ff
	v_add_co_ci_u32_e64 v26, s0, s7, v10, s0
	v_cvt_f32_f64_e32 v16, v[33:34]
	s_delay_alu instid0(VALU_DEP_3) | instskip(SKIP_1) | instid1(VALU_DEP_3)
	v_add_co_u32 v13, s0, v25, s6
	s_wait_alu 0xf1ff
	v_add_co_ci_u32_e64 v14, s0, s7, v26, s0
	v_cvt_f32_f64_e32 v15, v[27:28]
	v_cvt_f32_f64_e32 v5, v[5:6]
	;; [unrolled: 1-line block ×5, first 2 shown]
	v_add_co_u32 v33, s0, v13, s6
	v_cvt_f32_f64_e32 v27, v[41:42]
	v_cvt_f32_f64_e32 v28, v[17:18]
	v_cvt_f32_f64_e32 v17, v[19:20]
	v_cvt_f32_f64_e32 v18, v[39:40]
	s_wait_alu 0xf1ff
	v_add_co_ci_u32_e64 v34, s0, s7, v14, s0
	v_cvt_f32_f64_e32 v19, v[43:44]
	v_cvt_f32_f64_e32 v20, v[45:46]
	v_add_co_u32 v0, s0, v33, s6
	s_wait_alu 0xf1ff
	v_add_co_ci_u32_e64 v1, s0, s7, v34, s0
	global_store_b64 v[9:10], v[29:30], off
	v_add_co_u32 v9, s0, v0, s6
	s_wait_alu 0xf1ff
	v_add_co_ci_u32_e64 v10, s0, s7, v1, s0
	global_store_b64 v[25:26], v[23:24], off
	;; [unrolled: 4-line block ×6, first 2 shown]
	global_store_b64 v[21:22], v[7:8], off
	global_store_b64 v[13:14], v[27:28], off
	;; [unrolled: 1-line block ×4, first 2 shown]
	s_and_b32 exec_lo, exec_lo, vcc_lo
	s_cbranch_execz .LBB0_23
; %bb.22:
	global_load_b64 v[9:10], v[144:145], off offset:440
	ds_load_2addr_b64 v[5:8], v173 offset0:55 offset1:160
	v_mad_co_u64_u32 v[0:1], null, 0xffffe0e8, s4, v[0:1]
	s_mul_i32 s0, s5, 0xffffe0e8
	s_wait_alu 0xfffe
	s_sub_co_i32 s0, s0, s4
	s_wait_alu 0xfffe
	s_delay_alu instid0(VALU_DEP_1) | instskip(SKIP_3) | instid1(VALU_DEP_2)
	v_add_nc_u32_e32 v1, s0, v1
	s_wait_loadcnt_dscnt 0x0
	v_mul_f32_e32 v11, v6, v10
	v_mul_f32_e32 v10, v5, v10
	v_fmac_f32_e32 v11, v5, v9
	s_delay_alu instid0(VALU_DEP_2) | instskip(NEXT) | instid1(VALU_DEP_2)
	v_fma_f32 v9, v9, v6, -v10
	v_cvt_f64_f32_e32 v[5:6], v11
	s_delay_alu instid0(VALU_DEP_2) | instskip(NEXT) | instid1(VALU_DEP_2)
	v_cvt_f64_f32_e32 v[9:10], v9
	v_mul_f64_e32 v[5:6], s[2:3], v[5:6]
	s_delay_alu instid0(VALU_DEP_2) | instskip(NEXT) | instid1(VALU_DEP_2)
	v_mul_f64_e32 v[9:10], s[2:3], v[9:10]
	v_cvt_f32_f64_e32 v5, v[5:6]
	s_delay_alu instid0(VALU_DEP_2)
	v_cvt_f32_f64_e32 v6, v[9:10]
	global_store_b64 v[0:1], v[5:6], off
	global_load_b64 v[5:6], v[144:145], off offset:1280
	v_add_co_u32 v0, vcc_lo, v0, s6
	s_wait_alu 0xfffd
	v_add_co_ci_u32_e32 v1, vcc_lo, s7, v1, vcc_lo
	s_wait_loadcnt 0x0
	v_mul_f32_e32 v9, v8, v6
	v_mul_f32_e32 v6, v7, v6
	s_delay_alu instid0(VALU_DEP_2) | instskip(NEXT) | instid1(VALU_DEP_2)
	v_fmac_f32_e32 v9, v7, v5
	v_fma_f32 v7, v5, v8, -v6
	s_delay_alu instid0(VALU_DEP_2) | instskip(NEXT) | instid1(VALU_DEP_2)
	v_cvt_f64_f32_e32 v[5:6], v9
	v_cvt_f64_f32_e32 v[7:8], v7
	s_delay_alu instid0(VALU_DEP_2) | instskip(NEXT) | instid1(VALU_DEP_2)
	v_mul_f64_e32 v[5:6], s[2:3], v[5:6]
	v_mul_f64_e32 v[7:8], s[2:3], v[7:8]
	s_delay_alu instid0(VALU_DEP_2) | instskip(NEXT) | instid1(VALU_DEP_2)
	v_cvt_f32_f64_e32 v5, v[5:6]
	v_cvt_f32_f64_e32 v6, v[7:8]
	global_store_b64 v[0:1], v[5:6], off
	global_load_b64 v[9:10], v[144:145], off offset:2120
	ds_load_2addr_b64 v[5:8], v3 offset0:9 offset1:114
	v_add_co_u32 v0, vcc_lo, v0, s6
	s_wait_alu 0xfffd
	v_add_co_ci_u32_e32 v1, vcc_lo, s7, v1, vcc_lo
	s_wait_loadcnt_dscnt 0x0
	v_mul_f32_e32 v3, v6, v10
	v_mul_f32_e32 v10, v5, v10
	s_delay_alu instid0(VALU_DEP_2) | instskip(NEXT) | instid1(VALU_DEP_2)
	v_fmac_f32_e32 v3, v5, v9
	v_fma_f32 v9, v9, v6, -v10
	s_delay_alu instid0(VALU_DEP_2) | instskip(NEXT) | instid1(VALU_DEP_2)
	v_cvt_f64_f32_e32 v[5:6], v3
	v_cvt_f64_f32_e32 v[9:10], v9
	s_delay_alu instid0(VALU_DEP_2) | instskip(NEXT) | instid1(VALU_DEP_2)
	v_mul_f64_e32 v[5:6], s[2:3], v[5:6]
	v_mul_f64_e32 v[9:10], s[2:3], v[9:10]
	s_delay_alu instid0(VALU_DEP_2) | instskip(NEXT) | instid1(VALU_DEP_2)
	v_cvt_f32_f64_e32 v5, v[5:6]
	v_cvt_f32_f64_e32 v6, v[9:10]
	global_store_b64 v[0:1], v[5:6], off
	global_load_b64 v[5:6], v[144:145], off offset:2960
	v_add_co_u32 v0, vcc_lo, v0, s6
	s_wait_alu 0xfffd
	v_add_co_ci_u32_e32 v1, vcc_lo, s7, v1, vcc_lo
	s_wait_loadcnt 0x0
	v_mul_f32_e32 v3, v8, v6
	v_mul_f32_e32 v6, v7, v6
	s_delay_alu instid0(VALU_DEP_2) | instskip(NEXT) | instid1(VALU_DEP_2)
	v_fmac_f32_e32 v3, v7, v5
	v_fma_f32 v7, v5, v8, -v6
	s_delay_alu instid0(VALU_DEP_2) | instskip(NEXT) | instid1(VALU_DEP_2)
	v_cvt_f64_f32_e32 v[5:6], v3
	v_cvt_f64_f32_e32 v[7:8], v7
	s_delay_alu instid0(VALU_DEP_2) | instskip(NEXT) | instid1(VALU_DEP_2)
	v_mul_f64_e32 v[5:6], s[2:3], v[5:6]
	v_mul_f64_e32 v[7:8], s[2:3], v[7:8]
	s_delay_alu instid0(VALU_DEP_2) | instskip(NEXT) | instid1(VALU_DEP_2)
	v_cvt_f32_f64_e32 v5, v[5:6]
	v_cvt_f32_f64_e32 v6, v[7:8]
	global_store_b64 v[0:1], v[5:6], off
	global_load_b64 v[7:8], v[144:145], off offset:3800
	ds_load_2addr_b64 v[3:6], v4 offset0:91 offset1:196
	v_add_co_u32 v0, vcc_lo, v0, s6
	s_wait_alu 0xfffd
	v_add_co_ci_u32_e32 v1, vcc_lo, s7, v1, vcc_lo
	s_wait_loadcnt_dscnt 0x0
	v_mul_f32_e32 v9, v4, v8
	v_mul_f32_e32 v8, v3, v8
	s_delay_alu instid0(VALU_DEP_2) | instskip(NEXT) | instid1(VALU_DEP_2)
	v_fmac_f32_e32 v9, v3, v7
	v_fma_f32 v7, v7, v4, -v8
	s_delay_alu instid0(VALU_DEP_2) | instskip(NEXT) | instid1(VALU_DEP_2)
	v_cvt_f64_f32_e32 v[3:4], v9
	v_cvt_f64_f32_e32 v[7:8], v7
	s_delay_alu instid0(VALU_DEP_2) | instskip(NEXT) | instid1(VALU_DEP_2)
	v_mul_f64_e32 v[3:4], s[2:3], v[3:4]
	v_mul_f64_e32 v[7:8], s[2:3], v[7:8]
	s_delay_alu instid0(VALU_DEP_2) | instskip(NEXT) | instid1(VALU_DEP_2)
	v_cvt_f32_f64_e32 v3, v[3:4]
	v_cvt_f32_f64_e32 v4, v[7:8]
	global_store_b64 v[0:1], v[3:4], off
	global_load_b64 v[3:4], v[144:145], off offset:4640
	v_add_co_u32 v0, vcc_lo, v0, s6
	s_wait_alu 0xfffd
	v_add_co_ci_u32_e32 v1, vcc_lo, s7, v1, vcc_lo
	s_wait_loadcnt 0x0
	v_mul_f32_e32 v7, v6, v4
	v_mul_f32_e32 v4, v5, v4
	s_delay_alu instid0(VALU_DEP_2) | instskip(NEXT) | instid1(VALU_DEP_2)
	v_fmac_f32_e32 v7, v5, v3
	v_fma_f32 v5, v3, v6, -v4
	s_delay_alu instid0(VALU_DEP_2) | instskip(NEXT) | instid1(VALU_DEP_2)
	v_cvt_f64_f32_e32 v[3:4], v7
	v_cvt_f64_f32_e32 v[5:6], v5
	s_delay_alu instid0(VALU_DEP_2) | instskip(NEXT) | instid1(VALU_DEP_2)
	v_mul_f64_e32 v[3:4], s[2:3], v[3:4]
	v_mul_f64_e32 v[5:6], s[2:3], v[5:6]
	s_delay_alu instid0(VALU_DEP_2) | instskip(NEXT) | instid1(VALU_DEP_2)
	v_cvt_f32_f64_e32 v3, v[3:4]
	v_cvt_f32_f64_e32 v4, v[5:6]
	global_store_b64 v[0:1], v[3:4], off
	global_load_b64 v[7:8], v[144:145], off offset:5480
	v_add_nc_u32_e32 v3, 0x1400, v173
	v_add_co_u32 v0, vcc_lo, v0, s6
	s_wait_alu 0xfffd
	v_add_co_ci_u32_e32 v1, vcc_lo, s7, v1, vcc_lo
	ds_load_2addr_b64 v[3:6], v3 offset0:45 offset1:150
	s_wait_loadcnt_dscnt 0x0
	v_mul_f32_e32 v9, v4, v8
	v_mul_f32_e32 v8, v3, v8
	s_delay_alu instid0(VALU_DEP_2) | instskip(NEXT) | instid1(VALU_DEP_2)
	v_fmac_f32_e32 v9, v3, v7
	v_fma_f32 v7, v7, v4, -v8
	s_delay_alu instid0(VALU_DEP_2) | instskip(NEXT) | instid1(VALU_DEP_2)
	v_cvt_f64_f32_e32 v[3:4], v9
	v_cvt_f64_f32_e32 v[7:8], v7
	s_delay_alu instid0(VALU_DEP_2) | instskip(NEXT) | instid1(VALU_DEP_2)
	v_mul_f64_e32 v[3:4], s[2:3], v[3:4]
	v_mul_f64_e32 v[7:8], s[2:3], v[7:8]
	s_delay_alu instid0(VALU_DEP_2) | instskip(NEXT) | instid1(VALU_DEP_2)
	v_cvt_f32_f64_e32 v3, v[3:4]
	v_cvt_f32_f64_e32 v4, v[7:8]
	global_store_b64 v[0:1], v[3:4], off
	global_load_b64 v[3:4], v[144:145], off offset:6320
	s_wait_loadcnt 0x0
	v_mul_f32_e32 v7, v6, v4
	v_mul_f32_e32 v4, v5, v4
	s_delay_alu instid0(VALU_DEP_2) | instskip(NEXT) | instid1(VALU_DEP_2)
	v_fmac_f32_e32 v7, v5, v3
	v_fma_f32 v5, v3, v6, -v4
	s_delay_alu instid0(VALU_DEP_2) | instskip(NEXT) | instid1(VALU_DEP_2)
	v_cvt_f64_f32_e32 v[3:4], v7
	v_cvt_f64_f32_e32 v[5:6], v5
	s_delay_alu instid0(VALU_DEP_2) | instskip(NEXT) | instid1(VALU_DEP_2)
	v_mul_f64_e32 v[3:4], s[2:3], v[3:4]
	v_mul_f64_e32 v[5:6], s[2:3], v[5:6]
	s_delay_alu instid0(VALU_DEP_2) | instskip(NEXT) | instid1(VALU_DEP_2)
	v_cvt_f32_f64_e32 v3, v[3:4]
	v_cvt_f32_f64_e32 v4, v[5:6]
	v_add_co_u32 v5, vcc_lo, v0, s6
	s_wait_alu 0xfffd
	v_add_co_ci_u32_e32 v6, vcc_lo, s7, v1, vcc_lo
	global_store_b64 v[5:6], v[3:4], off
	global_load_b64 v[7:8], v[144:145], off offset:7160
	ds_load_2addr_b64 v[0:3], v2 offset0:127 offset1:232
	s_wait_loadcnt_dscnt 0x0
	v_mul_f32_e32 v4, v1, v8
	v_mul_f32_e32 v8, v0, v8
	s_delay_alu instid0(VALU_DEP_2) | instskip(NEXT) | instid1(VALU_DEP_2)
	v_fmac_f32_e32 v4, v0, v7
	v_fma_f32 v7, v7, v1, -v8
	s_delay_alu instid0(VALU_DEP_2) | instskip(NEXT) | instid1(VALU_DEP_2)
	v_cvt_f64_f32_e32 v[0:1], v4
	v_cvt_f64_f32_e32 v[7:8], v7
	v_add_co_u32 v4, vcc_lo, v5, s6
	s_wait_alu 0xfffd
	v_add_co_ci_u32_e32 v5, vcc_lo, s7, v6, vcc_lo
	s_delay_alu instid0(VALU_DEP_4) | instskip(NEXT) | instid1(VALU_DEP_4)
	v_mul_f64_e32 v[0:1], s[2:3], v[0:1]
	v_mul_f64_e32 v[7:8], s[2:3], v[7:8]
	s_delay_alu instid0(VALU_DEP_2) | instskip(NEXT) | instid1(VALU_DEP_2)
	v_cvt_f32_f64_e32 v0, v[0:1]
	v_cvt_f32_f64_e32 v1, v[7:8]
	global_store_b64 v[4:5], v[0:1], off
	global_load_b64 v[0:1], v[144:145], off offset:8000
	s_wait_loadcnt 0x0
	v_mul_f32_e32 v6, v3, v1
	v_mul_f32_e32 v1, v2, v1
	s_delay_alu instid0(VALU_DEP_2) | instskip(NEXT) | instid1(VALU_DEP_2)
	v_fmac_f32_e32 v6, v2, v0
	v_fma_f32 v2, v0, v3, -v1
	s_delay_alu instid0(VALU_DEP_2) | instskip(NEXT) | instid1(VALU_DEP_2)
	v_cvt_f64_f32_e32 v[0:1], v6
	v_cvt_f64_f32_e32 v[2:3], v2
	s_delay_alu instid0(VALU_DEP_2) | instskip(NEXT) | instid1(VALU_DEP_2)
	v_mul_f64_e32 v[0:1], s[2:3], v[0:1]
	v_mul_f64_e32 v[2:3], s[2:3], v[2:3]
	s_delay_alu instid0(VALU_DEP_2) | instskip(NEXT) | instid1(VALU_DEP_2)
	v_cvt_f32_f64_e32 v0, v[0:1]
	v_cvt_f32_f64_e32 v1, v[2:3]
	v_add_co_u32 v2, vcc_lo, v4, s6
	s_wait_alu 0xfffd
	v_add_co_ci_u32_e32 v3, vcc_lo, s7, v5, vcc_lo
	ds_load_b64 v[4:5], v173 offset:8840
	global_store_b64 v[2:3], v[0:1], off
	global_load_b64 v[0:1], v[144:145], off offset:8840
	v_add_co_u32 v2, vcc_lo, v2, s6
	s_wait_alu 0xfffd
	v_add_co_ci_u32_e32 v3, vcc_lo, s7, v3, vcc_lo
	s_wait_loadcnt_dscnt 0x0
	v_mul_f32_e32 v6, v5, v1
	v_mul_f32_e32 v1, v4, v1
	s_delay_alu instid0(VALU_DEP_2) | instskip(NEXT) | instid1(VALU_DEP_2)
	v_fmac_f32_e32 v6, v4, v0
	v_fma_f32 v4, v0, v5, -v1
	s_delay_alu instid0(VALU_DEP_2) | instskip(NEXT) | instid1(VALU_DEP_2)
	v_cvt_f64_f32_e32 v[0:1], v6
	v_cvt_f64_f32_e32 v[4:5], v4
	s_delay_alu instid0(VALU_DEP_2) | instskip(NEXT) | instid1(VALU_DEP_2)
	v_mul_f64_e32 v[0:1], s[2:3], v[0:1]
	v_mul_f64_e32 v[4:5], s[2:3], v[4:5]
	s_delay_alu instid0(VALU_DEP_2) | instskip(NEXT) | instid1(VALU_DEP_2)
	v_cvt_f32_f64_e32 v0, v[0:1]
	v_cvt_f32_f64_e32 v1, v[4:5]
	global_store_b64 v[2:3], v[0:1], off
.LBB0_23:
	s_nop 0
	s_sendmsg sendmsg(MSG_DEALLOC_VGPRS)
	s_endpgm
	.section	.rodata,"a",@progbits
	.p2align	6, 0x0
	.amdhsa_kernel bluestein_single_fwd_len1155_dim1_sp_op_CI_CI
		.amdhsa_group_segment_fixed_size 9240
		.amdhsa_private_segment_fixed_size 0
		.amdhsa_kernarg_size 104
		.amdhsa_user_sgpr_count 2
		.amdhsa_user_sgpr_dispatch_ptr 0
		.amdhsa_user_sgpr_queue_ptr 0
		.amdhsa_user_sgpr_kernarg_segment_ptr 1
		.amdhsa_user_sgpr_dispatch_id 0
		.amdhsa_user_sgpr_private_segment_size 0
		.amdhsa_wavefront_size32 1
		.amdhsa_uses_dynamic_stack 0
		.amdhsa_enable_private_segment 0
		.amdhsa_system_sgpr_workgroup_id_x 1
		.amdhsa_system_sgpr_workgroup_id_y 0
		.amdhsa_system_sgpr_workgroup_id_z 0
		.amdhsa_system_sgpr_workgroup_info 0
		.amdhsa_system_vgpr_workitem_id 0
		.amdhsa_next_free_vgpr 243
		.amdhsa_next_free_sgpr 16
		.amdhsa_reserve_vcc 1
		.amdhsa_float_round_mode_32 0
		.amdhsa_float_round_mode_16_64 0
		.amdhsa_float_denorm_mode_32 3
		.amdhsa_float_denorm_mode_16_64 3
		.amdhsa_fp16_overflow 0
		.amdhsa_workgroup_processor_mode 1
		.amdhsa_memory_ordered 1
		.amdhsa_forward_progress 0
		.amdhsa_round_robin_scheduling 0
		.amdhsa_exception_fp_ieee_invalid_op 0
		.amdhsa_exception_fp_denorm_src 0
		.amdhsa_exception_fp_ieee_div_zero 0
		.amdhsa_exception_fp_ieee_overflow 0
		.amdhsa_exception_fp_ieee_underflow 0
		.amdhsa_exception_fp_ieee_inexact 0
		.amdhsa_exception_int_div_zero 0
	.end_amdhsa_kernel
	.text
.Lfunc_end0:
	.size	bluestein_single_fwd_len1155_dim1_sp_op_CI_CI, .Lfunc_end0-bluestein_single_fwd_len1155_dim1_sp_op_CI_CI
                                        ; -- End function
	.section	.AMDGPU.csdata,"",@progbits
; Kernel info:
; codeLenInByte = 27148
; NumSgprs: 18
; NumVgprs: 243
; ScratchSize: 0
; MemoryBound: 0
; FloatMode: 240
; IeeeMode: 1
; LDSByteSize: 9240 bytes/workgroup (compile time only)
; SGPRBlocks: 2
; VGPRBlocks: 30
; NumSGPRsForWavesPerEU: 18
; NumVGPRsForWavesPerEU: 243
; Occupancy: 5
; WaveLimiterHint : 1
; COMPUTE_PGM_RSRC2:SCRATCH_EN: 0
; COMPUTE_PGM_RSRC2:USER_SGPR: 2
; COMPUTE_PGM_RSRC2:TRAP_HANDLER: 0
; COMPUTE_PGM_RSRC2:TGID_X_EN: 1
; COMPUTE_PGM_RSRC2:TGID_Y_EN: 0
; COMPUTE_PGM_RSRC2:TGID_Z_EN: 0
; COMPUTE_PGM_RSRC2:TIDIG_COMP_CNT: 0
	.text
	.p2alignl 7, 3214868480
	.fill 96, 4, 3214868480
	.type	__hip_cuid_41d6ffa8b78e85ee,@object ; @__hip_cuid_41d6ffa8b78e85ee
	.section	.bss,"aw",@nobits
	.globl	__hip_cuid_41d6ffa8b78e85ee
__hip_cuid_41d6ffa8b78e85ee:
	.byte	0                               ; 0x0
	.size	__hip_cuid_41d6ffa8b78e85ee, 1

	.ident	"AMD clang version 19.0.0git (https://github.com/RadeonOpenCompute/llvm-project roc-6.4.0 25133 c7fe45cf4b819c5991fe208aaa96edf142730f1d)"
	.section	".note.GNU-stack","",@progbits
	.addrsig
	.addrsig_sym __hip_cuid_41d6ffa8b78e85ee
	.amdgpu_metadata
---
amdhsa.kernels:
  - .args:
      - .actual_access:  read_only
        .address_space:  global
        .offset:         0
        .size:           8
        .value_kind:     global_buffer
      - .actual_access:  read_only
        .address_space:  global
        .offset:         8
        .size:           8
        .value_kind:     global_buffer
      - .actual_access:  read_only
        .address_space:  global
        .offset:         16
        .size:           8
        .value_kind:     global_buffer
      - .actual_access:  read_only
        .address_space:  global
        .offset:         24
        .size:           8
        .value_kind:     global_buffer
      - .actual_access:  read_only
        .address_space:  global
        .offset:         32
        .size:           8
        .value_kind:     global_buffer
      - .offset:         40
        .size:           8
        .value_kind:     by_value
      - .address_space:  global
        .offset:         48
        .size:           8
        .value_kind:     global_buffer
      - .address_space:  global
        .offset:         56
        .size:           8
        .value_kind:     global_buffer
      - .address_space:  global
        .offset:         64
        .size:           8
        .value_kind:     global_buffer
      - .address_space:  global
        .offset:         72
        .size:           8
        .value_kind:     global_buffer
      - .offset:         80
        .size:           4
        .value_kind:     by_value
      - .address_space:  global
        .offset:         88
        .size:           8
        .value_kind:     global_buffer
      - .address_space:  global
        .offset:         96
        .size:           8
        .value_kind:     global_buffer
    .group_segment_fixed_size: 9240
    .kernarg_segment_align: 8
    .kernarg_segment_size: 104
    .language:       OpenCL C
    .language_version:
      - 2
      - 0
    .max_flat_workgroup_size: 55
    .name:           bluestein_single_fwd_len1155_dim1_sp_op_CI_CI
    .private_segment_fixed_size: 0
    .sgpr_count:     18
    .sgpr_spill_count: 0
    .symbol:         bluestein_single_fwd_len1155_dim1_sp_op_CI_CI.kd
    .uniform_work_group_size: 1
    .uses_dynamic_stack: false
    .vgpr_count:     243
    .vgpr_spill_count: 0
    .wavefront_size: 32
    .workgroup_processor_mode: 1
amdhsa.target:   amdgcn-amd-amdhsa--gfx1201
amdhsa.version:
  - 1
  - 2
...

	.end_amdgpu_metadata
